;; amdgpu-corpus repo=ROCm/rocFFT kind=compiled arch=gfx950 opt=O3
	.text
	.amdgcn_target "amdgcn-amd-amdhsa--gfx950"
	.amdhsa_code_object_version 6
	.protected	bluestein_single_back_len1300_dim1_dp_op_CI_CI ; -- Begin function bluestein_single_back_len1300_dim1_dp_op_CI_CI
	.globl	bluestein_single_back_len1300_dim1_dp_op_CI_CI
	.p2align	8
	.type	bluestein_single_back_len1300_dim1_dp_op_CI_CI,@function
bluestein_single_back_len1300_dim1_dp_op_CI_CI: ; @bluestein_single_back_len1300_dim1_dp_op_CI_CI
; %bb.0:
	s_load_dwordx4 s[12:15], s[0:1], 0x28
	v_mul_u32_u24_e32 v1, 0x1f9, v0
	v_add_u32_sdwa v214, s2, v1 dst_sel:DWORD dst_unused:UNUSED_PAD src0_sel:DWORD src1_sel:WORD_1
	v_mov_b32_e32 v215, 0
	s_waitcnt lgkmcnt(0)
	v_cmp_gt_u64_e32 vcc, s[12:13], v[214:215]
	s_and_saveexec_b64 s[2:3], vcc
	s_cbranch_execz .LBB0_10
; %bb.1:
	s_load_dwordx4 s[4:7], s[0:1], 0x18
	s_load_dwordx4 s[8:11], s[0:1], 0x0
	v_mov_b32_e32 v2, s14
	v_mov_b32_e32 v3, s15
	s_movk_i32 s2, 0x82
	s_waitcnt lgkmcnt(0)
	s_load_dwordx4 s[12:15], s[4:5], 0x0
	v_mul_lo_u16_sdwa v1, v1, s2 dst_sel:DWORD dst_unused:UNUSED_PAD src0_sel:WORD_1 src1_sel:DWORD
	v_sub_u16_e32 v212, v0, v1
	v_mov_b32_e32 v12, 0x820
	v_lshlrev_b32_e32 v176, 4, v212
	s_waitcnt lgkmcnt(0)
	v_mad_u64_u32 v[0:1], s[2:3], s14, v214, 0
	v_mov_b32_e32 v4, v1
	v_mad_u64_u32 v[4:5], s[2:3], s15, v214, v[4:5]
	v_mov_b32_e32 v1, v4
	v_mad_u64_u32 v[4:5], s[2:3], s12, v212, 0
	v_mov_b32_e32 v6, v5
	v_mad_u64_u32 v[6:7], s[2:3], s13, v212, v[6:7]
	v_mov_b32_e32 v5, v6
	v_lshl_add_u64 v[0:1], v[0:1], 4, v[2:3]
	v_lshl_add_u64 v[2:3], v[4:5], 4, v[0:1]
	global_load_dwordx4 v[40:43], v[2:3], off
	v_mad_u64_u32 v[2:3], s[2:3], s12, v12, v[2:3]
	s_mul_i32 s2, s13, 0x820
	s_nop 0
	v_add_u32_e32 v3, s2, v3
	v_mov_b32_e32 v177, v215
	v_mad_u64_u32 v[4:5], s[4:5], s12, v12, v[2:3]
	v_lshl_add_u64 v[0:1], s[8:9], 0, v[176:177]
	global_load_dwordx4 v[242:245], v176, s[8:9]
	global_load_dwordx4 v[216:219], v176, s[8:9] offset:2080
	v_add_u32_e32 v5, s2, v5
	s_movk_i32 s3, 0x1000
	global_load_dwordx4 v[48:51], v[2:3], off
	global_load_dwordx4 v[44:47], v[4:5], off
	v_add_co_u32_e32 v2, vcc, s3, v0
	v_mad_u64_u32 v[4:5], s[4:5], s12, v12, v[4:5]
	s_nop 0
	v_addc_co_u32_e32 v3, vcc, 0, v1, vcc
	v_add_u32_e32 v5, s2, v5
	global_load_dwordx4 v[22:25], v[2:3], off offset:64
	global_load_dwordx4 v[18:21], v[2:3], off offset:2144
	v_mad_u64_u32 v[2:3], s[4:5], s12, v12, v[4:5]
	v_add_u32_e32 v3, s2, v3
	global_load_dwordx4 v[56:59], v[4:5], off
	global_load_dwordx4 v[52:55], v[2:3], off
	s_movk_i32 s3, 0x2000
	v_mad_u64_u32 v[2:3], s[4:5], s12, v12, v[2:3]
	v_add_co_u32_e32 v4, vcc, s3, v0
	v_add_u32_e32 v3, s2, v3
	s_nop 0
	v_addc_co_u32_e32 v5, vcc, 0, v1, vcc
	global_load_dwordx4 v[60:63], v[2:3], off
	global_load_dwordx4 v[26:29], v[4:5], off offset:128
	global_load_dwordx4 v[250:253], v[4:5], off offset:2208
	v_mad_u64_u32 v[2:3], s[4:5], s12, v12, v[2:3]
	v_add_u32_e32 v3, s2, v3
	s_movk_i32 s3, 0x3000
	v_mad_u64_u32 v[8:9], s[4:5], s12, v12, v[2:3]
	global_load_dwordx4 v[64:67], v[2:3], off
	v_add_co_u32_e32 v6, vcc, s3, v0
	v_add_u32_e32 v9, s2, v9
	s_nop 0
	v_addc_co_u32_e32 v7, vcc, 0, v1, vcc
	global_load_dwordx4 v[2:5], v[8:9], off
	global_load_dwordx4 v[34:37], v[6:7], off offset:192
	global_load_dwordx4 v[30:33], v[6:7], off offset:2272
	s_movk_i32 s3, 0x4000
	v_mad_u64_u32 v[10:11], s[4:5], s12, v12, v[8:9]
	v_add_co_u32_e32 v0, vcc, s3, v0
	v_add_u32_e32 v11, s2, v11
	s_nop 0
	v_addc_co_u32_e32 v1, vcc, 0, v1, vcc
	global_load_dwordx4 v[6:9], v[10:11], off
	global_load_dwordx4 v[68:71], v[0:1], off offset:256
	v_mad_u64_u32 v[14:15], s[4:5], s12, v12, v[10:11]
	v_add_u32_e32 v15, s2, v15
	global_load_dwordx4 v[72:75], v[0:1], off offset:2336
	global_load_dwordx4 v[10:13], v[14:15], off
	s_load_dwordx4 s[4:7], s[6:7], 0x0
	s_mov_b32 s18, 0x134454ff
	s_mov_b32 s19, 0x3fee6f0e
	;; [unrolled: 1-line block ×12, first 2 shown]
	s_movk_i32 s2, 0xcd
                                        ; implicit-def: $vgpr164_vgpr165
                                        ; implicit-def: $vgpr168_vgpr169
                                        ; implicit-def: $vgpr172_vgpr173
	s_waitcnt vmcnt(18)
	v_mul_f64 v[14:15], v[42:43], v[244:245]
	v_mul_f64 v[0:1], v[40:41], v[244:245]
	v_fmac_f64_e32 v[14:15], v[40:41], v[242:243]
	v_fma_f64 v[16:17], v[42:43], v[242:243], -v[0:1]
	ds_write_b128 v176, v[14:17]
	s_waitcnt vmcnt(16)
	v_mul_f64 v[14:15], v[50:51], v[218:219]
	v_mul_f64 v[0:1], v[48:49], v[218:219]
	v_fmac_f64_e32 v[14:15], v[48:49], v[216:217]
	v_fma_f64 v[16:17], v[50:51], v[216:217], -v[0:1]
	ds_write_b128 v176, v[14:17] offset:2080
	s_waitcnt vmcnt(14)
	v_mul_f64 v[14:15], v[46:47], v[24:25]
	v_mul_f64 v[0:1], v[44:45], v[24:25]
	v_fmac_f64_e32 v[14:15], v[44:45], v[22:23]
	v_fma_f64 v[16:17], v[46:47], v[22:23], -v[0:1]
	ds_write_b128 v176, v[14:17] offset:4160
	;; [unrolled: 6-line block ×3, first 2 shown]
	v_accvgpr_write_b32 a18, v22
	v_accvgpr_write_b32 a14, v18
	;; [unrolled: 1-line block ×3, first 2 shown]
	s_waitcnt vmcnt(9)
	v_mul_f64 v[14:15], v[54:55], v[28:29]
	v_mul_f64 v[0:1], v[52:53], v[28:29]
	v_fmac_f64_e32 v[14:15], v[52:53], v[26:27]
	v_fma_f64 v[16:17], v[54:55], v[26:27], -v[0:1]
	ds_write_b128 v176, v[14:17] offset:8320
	s_waitcnt vmcnt(8)
	v_mul_f64 v[14:15], v[62:63], v[252:253]
	v_mul_f64 v[0:1], v[60:61], v[252:253]
	v_fmac_f64_e32 v[14:15], v[60:61], v[250:251]
	v_fma_f64 v[16:17], v[62:63], v[250:251], -v[0:1]
	ds_write_b128 v176, v[14:17] offset:10400
	v_accvgpr_write_b32 a22, v26
	v_accvgpr_write_b32 a20, v24
	;; [unrolled: 1-line block ×3, first 2 shown]
	s_waitcnt vmcnt(5)
	v_mul_f64 v[0:1], v[64:65], v[36:37]
	v_fma_f64 v[16:17], v[66:67], v[34:35], -v[0:1]
	s_waitcnt vmcnt(4)
	v_mul_f64 v[0:1], v[4:5], v[32:33]
	v_fmac_f64_e32 v[0:1], v[2:3], v[30:31]
	v_mul_f64 v[2:3], v[2:3], v[32:33]
	v_fma_f64 v[2:3], v[4:5], v[30:31], -v[2:3]
	ds_write_b128 v176, v[0:3] offset:14560
	v_mul_f64 v[14:15], v[66:67], v[36:37]
	v_fmac_f64_e32 v[14:15], v[64:65], v[34:35]
	v_accvgpr_write_b32 a15, v19
	v_accvgpr_write_b32 a16, v20
	s_waitcnt vmcnt(2)
	v_mul_f64 v[0:1], v[8:9], v[70:71]
	v_mul_f64 v[2:3], v[6:7], v[70:71]
	v_fmac_f64_e32 v[0:1], v[6:7], v[68:69]
	v_fma_f64 v[2:3], v[8:9], v[68:69], -v[2:3]
	ds_write_b128 v176, v[0:3] offset:16640
	s_waitcnt vmcnt(0)
	v_mul_f64 v[0:1], v[12:13], v[74:75]
	v_mul_f64 v[2:3], v[10:11], v[74:75]
	v_fmac_f64_e32 v[0:1], v[10:11], v[72:73]
	v_fma_f64 v[2:3], v[12:13], v[72:73], -v[2:3]
	v_accvgpr_write_b32 a17, v21
	v_accvgpr_write_b32 a23, v27
	;; [unrolled: 1-line block ×4, first 2 shown]
	ds_write_b128 v176, v[14:17] offset:12480
	ds_write_b128 v176, v[0:3] offset:18720
	s_waitcnt lgkmcnt(0)
	s_barrier
	ds_read_b128 v[40:43], v176
	ds_read_b128 v[44:47], v176 offset:2080
	ds_read_b128 v[12:15], v176 offset:4160
	;; [unrolled: 1-line block ×9, first 2 shown]
	s_waitcnt lgkmcnt(7)
	v_add_f64 v[0:1], v[40:41], v[12:13]
	s_waitcnt lgkmcnt(5)
	v_add_f64 v[0:1], v[0:1], v[16:17]
	;; [unrolled: 2-line block ×4, first 2 shown]
	v_add_f64 v[0:1], v[16:17], v[20:21]
	v_fma_f64 v[0:1], -0.5, v[0:1], v[40:41]
	v_add_f64 v[6:7], v[14:15], -v[26:27]
	v_fma_f64 v[4:5], s[18:19], v[6:7], v[0:1]
	v_add_f64 v[8:9], v[18:19], -v[22:23]
	v_add_f64 v[10:11], v[12:13], -v[16:17]
	;; [unrolled: 1-line block ×3, first 2 shown]
	v_fmac_f64_e32 v[0:1], s[16:17], v[6:7]
	v_fmac_f64_e32 v[4:5], s[20:21], v[8:9]
	v_add_f64 v[10:11], v[10:11], v[28:29]
	v_fmac_f64_e32 v[0:1], s[12:13], v[8:9]
	v_fmac_f64_e32 v[4:5], s[14:15], v[10:11]
	;; [unrolled: 1-line block ×3, first 2 shown]
	v_add_f64 v[10:11], v[12:13], v[24:25]
	v_fmac_f64_e32 v[40:41], -0.5, v[10:11]
	v_accvgpr_write_b32 a26, v30
	v_fma_f64 v[10:11], s[16:17], v[8:9], v[40:41]
	v_fmac_f64_e32 v[40:41], s[18:19], v[8:9]
	v_add_f64 v[8:9], v[18:19], v[22:23]
	v_accvgpr_write_b32 a27, v31
	v_accvgpr_write_b32 a28, v32
	;; [unrolled: 1-line block ×3, first 2 shown]
	v_add_f64 v[30:31], v[20:21], -v[24:25]
	v_fma_f64 v[64:65], -0.5, v[8:9], v[42:43]
	v_add_f64 v[24:25], v[12:13], -v[24:25]
	v_add_f64 v[28:29], v[16:17], -v[12:13]
	v_fma_f64 v[8:9], s[16:17], v[24:25], v[64:65]
	v_add_f64 v[16:17], v[16:17], -v[20:21]
	v_add_f64 v[12:13], v[14:15], -v[18:19]
	;; [unrolled: 1-line block ×3, first 2 shown]
	v_fmac_f64_e32 v[64:65], s[18:19], v[24:25]
	v_fmac_f64_e32 v[8:9], s[12:13], v[16:17]
	v_add_f64 v[12:13], v[12:13], v[20:21]
	v_fmac_f64_e32 v[64:65], s[20:21], v[16:17]
	v_fmac_f64_e32 v[8:9], s[14:15], v[12:13]
	;; [unrolled: 1-line block ×3, first 2 shown]
	v_add_f64 v[12:13], v[14:15], v[26:27]
	v_fmac_f64_e32 v[10:11], s[20:21], v[6:7]
	v_fmac_f64_e32 v[40:41], s[12:13], v[6:7]
	v_add_f64 v[6:7], v[42:43], v[14:15]
	v_fmac_f64_e32 v[42:43], -0.5, v[12:13]
	v_add_f64 v[6:7], v[6:7], v[18:19]
	v_fma_f64 v[12:13], s[18:19], v[16:17], v[42:43]
	v_add_f64 v[14:15], v[18:19], -v[14:15]
	v_add_f64 v[18:19], v[22:23], -v[26:27]
	v_fmac_f64_e32 v[42:43], s[16:17], v[16:17]
	v_fmac_f64_e32 v[12:13], s[12:13], v[24:25]
	v_add_f64 v[14:15], v[14:15], v[18:19]
	v_fmac_f64_e32 v[42:43], s[20:21], v[24:25]
	v_fmac_f64_e32 v[12:13], s[14:15], v[14:15]
	;; [unrolled: 1-line block ×3, first 2 shown]
	v_add_f64 v[14:15], v[44:45], v[48:49]
	v_add_f64 v[14:15], v[14:15], v[52:53]
	v_accvgpr_write_b32 a30, v34
	v_add_f64 v[14:15], v[14:15], v[56:57]
	v_accvgpr_write_b32 a31, v35
	v_accvgpr_write_b32 a32, v36
	v_accvgpr_write_b32 a33, v37
	s_waitcnt lgkmcnt(0)
	v_add_f64 v[34:35], v[14:15], v[60:61]
	v_add_f64 v[14:15], v[52:53], v[56:57]
	v_fma_f64 v[32:33], -0.5, v[14:15], v[44:45]
	v_add_f64 v[14:15], v[50:51], -v[62:63]
	v_add_f64 v[6:7], v[6:7], v[22:23]
	v_fma_f64 v[20:21], s[18:19], v[14:15], v[32:33]
	v_add_f64 v[16:17], v[54:55], -v[58:59]
	v_add_f64 v[18:19], v[48:49], -v[52:53]
	;; [unrolled: 1-line block ×3, first 2 shown]
	v_fmac_f64_e32 v[32:33], s[16:17], v[14:15]
	v_fmac_f64_e32 v[20:21], s[20:21], v[16:17]
	v_add_f64 v[18:19], v[18:19], v[22:23]
	v_fmac_f64_e32 v[32:33], s[12:13], v[16:17]
	v_fmac_f64_e32 v[20:21], s[14:15], v[18:19]
	;; [unrolled: 1-line block ×3, first 2 shown]
	v_add_f64 v[18:19], v[48:49], v[60:61]
	v_fmac_f64_e32 v[44:45], -0.5, v[18:19]
	v_fma_f64 v[24:25], s[16:17], v[16:17], v[44:45]
	v_fmac_f64_e32 v[44:45], s[18:19], v[16:17]
	v_fmac_f64_e32 v[24:25], s[20:21], v[14:15]
	;; [unrolled: 1-line block ×3, first 2 shown]
	v_add_f64 v[14:15], v[46:47], v[50:51]
	v_add_f64 v[14:15], v[14:15], v[54:55]
	;; [unrolled: 1-line block ×3, first 2 shown]
	v_add_f64 v[18:19], v[52:53], -v[48:49]
	v_add_f64 v[22:23], v[56:57], -v[60:61]
	v_add_f64 v[36:37], v[14:15], v[62:63]
	v_add_f64 v[14:15], v[54:55], v[58:59]
	;; [unrolled: 1-line block ×4, first 2 shown]
	v_fma_f64 v[38:39], -0.5, v[14:15], v[46:47]
	v_add_f64 v[14:15], v[48:49], -v[60:61]
	v_fmac_f64_e32 v[10:11], s[14:15], v[28:29]
	v_fmac_f64_e32 v[40:41], s[14:15], v[28:29]
	;; [unrolled: 1-line block ×4, first 2 shown]
	v_fma_f64 v[28:29], s[16:17], v[14:15], v[38:39]
	v_add_f64 v[16:17], v[52:53], -v[56:57]
	v_add_f64 v[18:19], v[50:51], -v[54:55]
	;; [unrolled: 1-line block ×3, first 2 shown]
	v_fmac_f64_e32 v[38:39], s[18:19], v[14:15]
	v_fmac_f64_e32 v[28:29], s[12:13], v[16:17]
	v_add_f64 v[18:19], v[18:19], v[22:23]
	v_fmac_f64_e32 v[38:39], s[20:21], v[16:17]
	v_fmac_f64_e32 v[28:29], s[14:15], v[18:19]
	;; [unrolled: 1-line block ×3, first 2 shown]
	v_add_f64 v[18:19], v[50:51], v[62:63]
	v_fmac_f64_e32 v[46:47], -0.5, v[18:19]
	v_fma_f64 v[48:49], s[18:19], v[16:17], v[46:47]
	v_add_f64 v[18:19], v[54:55], -v[50:51]
	v_add_f64 v[22:23], v[58:59], -v[62:63]
	v_fmac_f64_e32 v[46:47], s[16:17], v[16:17]
	v_add_f64 v[18:19], v[18:19], v[22:23]
	v_fmac_f64_e32 v[46:47], s[20:21], v[14:15]
	v_fmac_f64_e32 v[48:49], s[12:13], v[14:15]
	;; [unrolled: 1-line block ×3, first 2 shown]
	v_mul_f64 v[16:17], v[44:45], s[14:15]
	v_fmac_f64_e32 v[48:49], s[14:15], v[18:19]
	v_mul_f64 v[50:51], v[20:21], s[22:23]
	v_fma_f64 v[54:55], v[46:47], s[18:19], -v[16:17]
	v_mul_f64 v[16:17], v[32:33], s[22:23]
	v_mul_f64 v[58:59], v[20:21], s[12:13]
	v_fmac_f64_e32 v[50:51], s[20:21], v[28:29]
	v_mul_f64 v[52:53], v[48:49], s[18:19]
	v_fma_f64 v[56:57], v[38:39], s[20:21], -v[16:17]
	v_fmac_f64_e32 v[58:59], s[22:23], v[28:29]
	v_mul_f64 v[28:29], v[46:47], s[14:15]
	v_add_f64 v[6:7], v[6:7], v[26:27]
	v_fmac_f64_e32 v[52:53], s[14:15], v[24:25]
	v_add_f64 v[30:31], v[0:1], v[56:57]
	v_mul_f64 v[60:61], v[24:25], s[16:17]
	v_fma_f64 v[46:47], v[44:45], s[16:17], -v[28:29]
	v_mul_f64 v[38:39], v[38:39], s[22:23]
	v_add_f64 v[44:45], v[0:1], -v[56:57]
	v_mul_lo_u16_e32 v0, 10, v212
	v_add_f64 v[14:15], v[2:3], v[34:35]
	v_add_f64 v[22:23], v[10:11], v[52:53]
	;; [unrolled: 1-line block ×3, first 2 shown]
	v_fmac_f64_e32 v[60:61], s[14:15], v[48:49]
	v_fma_f64 v[48:49], v[32:33], s[12:13], -v[38:39]
	v_lshlrev_b32_e32 v210, 4, v0
	v_mul_lo_u16_sdwa v0, v212, s2 dst_sel:DWORD dst_unused:UNUSED_PAD src0_sel:BYTE_0 src1_sel:DWORD
	v_add_f64 v[18:19], v[4:5], v[50:51]
	v_add_f64 v[26:27], v[40:41], v[54:55]
	;; [unrolled: 1-line block ×6, first 2 shown]
	v_add_f64 v[2:3], v[2:3], -v[34:35]
	v_add_f64 v[34:35], v[4:5], -v[50:51]
	v_add_f64 v[10:11], v[10:11], -v[52:53]
	v_add_f64 v[38:39], v[40:41], -v[54:55]
	v_add_f64 v[4:5], v[6:7], -v[36:37]
	v_add_f64 v[36:37], v[8:9], -v[58:59]
	v_add_f64 v[12:13], v[12:13], -v[60:61]
	v_add_f64 v[40:41], v[42:43], -v[46:47]
	v_add_f64 v[46:47], v[64:65], -v[48:49]
	s_barrier
	ds_write_b128 v210, v[14:17]
	ds_write_b128 v210, v[18:21] offset:16
	ds_write_b128 v210, v[22:25] offset:32
	;; [unrolled: 1-line block ×9, first 2 shown]
	v_lshrrev_b16_e32 v22, 11, v0
	v_mul_lo_u16_e32 v0, 10, v22
	v_sub_u16_e32 v0, v212, v0
	v_and_b32_e32 v23, 0xff, v0
	s_movk_i32 s2, 0x90
	v_mov_b64_e32 v[0:1], s[10:11]
	v_accvgpr_write_b32 a34, v68
	v_accvgpr_write_b32 a38, v72
	v_mad_u64_u32 v[0:1], s[2:3], v23, s2, v[0:1]
	v_accvgpr_write_b32 a35, v69
	v_accvgpr_write_b32 a36, v70
	;; [unrolled: 1-line block ×6, first 2 shown]
	s_waitcnt lgkmcnt(0)
	s_barrier
	global_load_dwordx4 v[52:55], v[0:1], off
	global_load_dwordx4 v[48:51], v[0:1], off offset:16
	global_load_dwordx4 v[44:47], v[0:1], off offset:32
	;; [unrolled: 1-line block ×8, first 2 shown]
	ds_read_b128 v[76:79], v176
	ds_read_b128 v[4:7], v176 offset:2080
	ds_read_b128 v[8:11], v176 offset:4160
	;; [unrolled: 1-line block ×9, first 2 shown]
	s_load_dwordx2 s[2:3], s[0:1], 0x38
	s_movk_i32 s0, 0x64
	v_cmp_gt_u16_e32 vcc, s0, v212
	s_waitcnt lgkmcnt(0)
	s_barrier
	s_waitcnt vmcnt(8)
	v_mul_f64 v[0:1], v[6:7], v[54:55]
	v_fma_f64 v[2:3], v[4:5], v[52:53], -v[0:1]
	s_waitcnt vmcnt(7)
	v_mul_f64 v[0:1], v[10:11], v[50:51]
	v_fma_f64 v[16:17], v[8:9], v[48:49], -v[0:1]
	;; [unrolled: 3-line block ×4, first 2 shown]
	v_mul_f64 v[24:25], v[24:25], v[42:43]
	s_waitcnt vmcnt(4)
	v_mul_f64 v[0:1], v[30:31], v[70:71]
	v_fmac_f64_e32 v[24:25], v[26:27], v[40:41]
	v_fma_f64 v[26:27], v[28:29], v[68:69], -v[0:1]
	s_waitcnt vmcnt(3)
	v_mul_f64 v[0:1], v[34:35], v[66:67]
	v_mul_f64 v[20:21], v[28:29], v[70:71]
	v_fma_f64 v[28:29], v[32:33], v[64:65], -v[0:1]
	s_waitcnt vmcnt(2)
	v_mul_f64 v[0:1], v[38:39], v[62:63]
	v_fmac_f64_e32 v[20:21], v[30:31], v[68:69]
	v_mul_f64 v[30:31], v[32:33], v[66:67]
	v_fma_f64 v[32:33], v[36:37], v[60:61], -v[0:1]
	s_waitcnt vmcnt(1)
	v_mul_f64 v[0:1], v[82:83], v[58:59]
	v_fmac_f64_e32 v[30:31], v[34:35], v[64:65]
	;; [unrolled: 5-line block ×3, first 2 shown]
	v_mul_f64 v[38:39], v[80:81], v[58:59]
	v_fma_f64 v[80:81], v[84:85], v[72:73], -v[0:1]
	v_add_f64 v[0:1], v[76:77], v[16:17]
	v_add_f64 v[0:1], v[0:1], v[92:93]
	v_mul_f64 v[88:89], v[8:9], v[50:51]
	v_add_f64 v[0:1], v[0:1], v[28:29]
	v_mul_f64 v[4:5], v[4:5], v[54:55]
	v_fmac_f64_e32 v[88:89], v[10:11], v[48:49]
	v_fmac_f64_e32 v[38:39], v[82:83], v[56:57]
	v_add_f64 v[8:9], v[0:1], v[36:37]
	v_add_f64 v[0:1], v[92:93], v[28:29]
	v_fmac_f64_e32 v[4:5], v[6:7], v[52:53]
	v_mul_f64 v[18:19], v[12:13], v[46:47]
	v_fma_f64 v[6:7], -0.5, v[0:1], v[76:77]
	v_add_f64 v[0:1], v[88:89], -v[38:39]
	v_fmac_f64_e32 v[18:19], v[14:15], v[44:45]
	v_mul_f64 v[82:83], v[84:85], v[74:75]
	v_fma_f64 v[10:11], s[18:19], v[0:1], v[6:7]
	v_add_f64 v[12:13], v[24:25], -v[30:31]
	v_add_f64 v[14:15], v[16:17], -v[92:93]
	;; [unrolled: 1-line block ×3, first 2 shown]
	v_fmac_f64_e32 v[6:7], s[16:17], v[0:1]
	v_fmac_f64_e32 v[10:11], s[20:21], v[12:13]
	v_add_f64 v[14:15], v[14:15], v[84:85]
	v_fmac_f64_e32 v[6:7], s[12:13], v[12:13]
	v_fmac_f64_e32 v[10:11], s[14:15], v[14:15]
	;; [unrolled: 1-line block ×3, first 2 shown]
	v_add_f64 v[14:15], v[16:17], v[36:37]
	v_fmac_f64_e32 v[76:77], -0.5, v[14:15]
	v_fma_f64 v[14:15], s[16:17], v[12:13], v[76:77]
	v_fmac_f64_e32 v[76:77], s[18:19], v[12:13]
	v_fmac_f64_e32 v[14:15], s[20:21], v[0:1]
	;; [unrolled: 1-line block ×3, first 2 shown]
	v_add_f64 v[0:1], v[78:79], v[88:89]
	v_add_f64 v[0:1], v[0:1], v[24:25]
	;; [unrolled: 1-line block ×3, first 2 shown]
	v_fmac_f64_e32 v[82:83], v[86:87], v[72:73]
	v_add_f64 v[84:85], v[92:93], -v[16:17]
	v_add_f64 v[86:87], v[28:29], -v[36:37]
	v_add_f64 v[12:13], v[0:1], v[38:39]
	v_add_f64 v[0:1], v[24:25], v[30:31]
	;; [unrolled: 1-line block ×3, first 2 shown]
	v_fma_f64 v[0:1], -0.5, v[0:1], v[78:79]
	v_add_f64 v[36:37], v[16:17], -v[36:37]
	v_fmac_f64_e32 v[14:15], s[14:15], v[84:85]
	v_fmac_f64_e32 v[76:77], s[14:15], v[84:85]
	v_fma_f64 v[16:17], s[16:17], v[36:37], v[0:1]
	v_add_f64 v[28:29], v[92:93], -v[28:29]
	v_add_f64 v[84:85], v[88:89], -v[24:25]
	;; [unrolled: 1-line block ×3, first 2 shown]
	v_fmac_f64_e32 v[0:1], s[18:19], v[36:37]
	v_fmac_f64_e32 v[16:17], s[12:13], v[28:29]
	v_add_f64 v[84:85], v[84:85], v[86:87]
	v_fmac_f64_e32 v[0:1], s[20:21], v[28:29]
	v_fmac_f64_e32 v[16:17], s[14:15], v[84:85]
	;; [unrolled: 1-line block ×3, first 2 shown]
	v_add_f64 v[84:85], v[88:89], v[38:39]
	v_fmac_f64_e32 v[78:79], -0.5, v[84:85]
	v_fma_f64 v[84:85], s[18:19], v[28:29], v[78:79]
	v_add_f64 v[24:25], v[24:25], -v[88:89]
	v_add_f64 v[30:31], v[30:31], -v[38:39]
	v_fmac_f64_e32 v[78:79], s[16:17], v[28:29]
	v_add_f64 v[28:29], v[26:27], v[32:33]
	v_add_f64 v[24:25], v[24:25], v[30:31]
	v_fma_f64 v[28:29], -0.5, v[28:29], v[2:3]
	v_add_f64 v[30:31], v[18:19], -v[82:83]
	v_fmac_f64_e32 v[84:85], s[12:13], v[36:37]
	v_fmac_f64_e32 v[78:79], s[20:21], v[36:37]
	v_fma_f64 v[36:37], s[18:19], v[30:31], v[28:29]
	v_add_f64 v[38:39], v[20:21], -v[34:35]
	v_add_f64 v[86:87], v[90:91], -v[26:27]
	;; [unrolled: 1-line block ×3, first 2 shown]
	v_fmac_f64_e32 v[28:29], s[16:17], v[30:31]
	v_fmac_f64_e32 v[36:37], s[20:21], v[38:39]
	v_add_f64 v[86:87], v[86:87], v[88:89]
	v_fmac_f64_e32 v[28:29], s[12:13], v[38:39]
	v_fmac_f64_e32 v[84:85], s[14:15], v[24:25]
	;; [unrolled: 1-line block ×3, first 2 shown]
	v_add_f64 v[24:25], v[2:3], v[90:91]
	v_fmac_f64_e32 v[36:37], s[14:15], v[86:87]
	v_fmac_f64_e32 v[28:29], s[14:15], v[86:87]
	v_add_f64 v[86:87], v[90:91], v[80:81]
	v_add_f64 v[24:25], v[24:25], v[26:27]
	v_fmac_f64_e32 v[2:3], -0.5, v[86:87]
	v_add_f64 v[24:25], v[24:25], v[32:33]
	v_fma_f64 v[86:87], s[16:17], v[38:39], v[2:3]
	v_add_f64 v[88:89], v[26:27], -v[90:91]
	v_add_f64 v[92:93], v[32:33], -v[80:81]
	v_fmac_f64_e32 v[2:3], s[18:19], v[38:39]
	v_add_f64 v[38:39], v[20:21], v[34:35]
	v_add_f64 v[24:25], v[24:25], v[80:81]
	v_fmac_f64_e32 v[86:87], s[20:21], v[30:31]
	v_add_f64 v[88:89], v[88:89], v[92:93]
	v_fmac_f64_e32 v[2:3], s[12:13], v[30:31]
	v_fma_f64 v[38:39], -0.5, v[38:39], v[4:5]
	v_add_f64 v[80:81], v[90:91], -v[80:81]
	v_fmac_f64_e32 v[86:87], s[14:15], v[88:89]
	v_fmac_f64_e32 v[2:3], s[14:15], v[88:89]
	v_fma_f64 v[88:89], s[16:17], v[80:81], v[38:39]
	v_add_f64 v[26:27], v[26:27], -v[32:33]
	v_add_f64 v[32:33], v[18:19], -v[20:21]
	;; [unrolled: 1-line block ×3, first 2 shown]
	v_fmac_f64_e32 v[38:39], s[18:19], v[80:81]
	v_fmac_f64_e32 v[88:89], s[12:13], v[26:27]
	v_add_f64 v[32:33], v[32:33], v[90:91]
	v_fmac_f64_e32 v[38:39], s[20:21], v[26:27]
	v_fmac_f64_e32 v[88:89], s[14:15], v[32:33]
	;; [unrolled: 1-line block ×3, first 2 shown]
	v_add_f64 v[32:33], v[18:19], v[82:83]
	v_add_f64 v[30:31], v[4:5], v[18:19]
	v_fmac_f64_e32 v[4:5], -0.5, v[32:33]
	v_add_f64 v[30:31], v[30:31], v[20:21]
	v_fma_f64 v[32:33], s[18:19], v[26:27], v[4:5]
	v_add_f64 v[18:19], v[20:21], -v[18:19]
	v_add_f64 v[20:21], v[34:35], -v[82:83]
	v_fmac_f64_e32 v[4:5], s[16:17], v[26:27]
	v_add_f64 v[18:19], v[18:19], v[20:21]
	v_fmac_f64_e32 v[4:5], s[20:21], v[80:81]
	v_fmac_f64_e32 v[4:5], s[14:15], v[18:19]
	v_mul_f64 v[26:27], v[2:3], s[14:15]
	v_fmac_f64_e32 v[32:33], s[12:13], v[80:81]
	v_fma_f64 v[26:27], v[4:5], s[18:19], -v[26:27]
	v_mul_f64 v[4:5], v[4:5], s[14:15]
	v_fmac_f64_e32 v[32:33], s[14:15], v[18:19]
	v_mul_f64 v[18:19], v[88:89], s[20:21]
	v_fma_f64 v[2:3], v[2:3], s[16:17], -v[4:5]
	v_mul_f64 v[4:5], v[38:39], s[22:23]
	v_add_f64 v[30:31], v[30:31], v[34:35]
	v_fmac_f64_e32 v[18:19], s[22:23], v[36:37]
	v_mul_f64 v[20:21], v[32:33], s[18:19]
	v_mul_f64 v[34:35], v[28:29], s[22:23]
	;; [unrolled: 1-line block ×4, first 2 shown]
	v_fma_f64 v[4:5], v[28:29], s[12:13], -v[4:5]
	v_add_f64 v[30:31], v[30:31], v[82:83]
	v_fmac_f64_e32 v[20:21], s[14:15], v[86:87]
	v_fma_f64 v[34:35], v[38:39], s[20:21], -v[34:35]
	v_fmac_f64_e32 v[36:37], s[22:23], v[88:89]
	v_fmac_f64_e32 v[80:81], s[14:15], v[32:33]
	v_add_f64 v[142:143], v[0:1], v[4:5]
	v_add_f64 v[162:163], v[0:1], -v[4:5]
	v_mul_u32_u24_e32 v0, 0x64, v22
	v_add_f64 v[136:137], v[8:9], v[24:25]
	v_add_f64 v[124:125], v[10:11], v[18:19]
	;; [unrolled: 1-line block ×9, first 2 shown]
	v_add_f64 v[144:145], v[8:9], -v[24:25]
	v_add_f64 v[148:149], v[10:11], -v[18:19]
	;; [unrolled: 1-line block ×9, first 2 shown]
	v_add_lshl_u32 v211, v0, v23, 4
	ds_write_b128 v211, v[136:139]
	ds_write_b128 v211, v[124:127] offset:160
	ds_write_b128 v211, v[128:131] offset:320
	;; [unrolled: 1-line block ×9, first 2 shown]
	s_waitcnt lgkmcnt(0)
	s_barrier
	s_and_saveexec_b64 s[0:1], vcc
	s_cbranch_execz .LBB0_3
; %bb.2:
	ds_read_b128 v[136:139], v176
	ds_read_b128 v[124:127], v176 offset:1600
	ds_read_b128 v[128:131], v176 offset:3200
	;; [unrolled: 1-line block ×12, first 2 shown]
.LBB0_3:
	s_or_b64 exec, exec, s[0:1]
	v_add_u32_e32 v0, 0xffffff9c, v212
	v_cndmask_b32_e32 v0, v0, v212, vcc
	v_mul_hi_i32_i24_e32 v1, 0xc0, v0
	v_mul_i32_i24_e32 v0, 0xc0, v0
	v_lshl_add_u64 v[0:1], s[10:11], 0, v[0:1]
	global_load_dwordx4 v[24:27], v[0:1], off offset:1440
	global_load_dwordx4 v[80:83], v[0:1], off offset:1456
	;; [unrolled: 1-line block ×12, first 2 shown]
	s_mov_b32 s16, 0x4267c47c
	s_mov_b32 s0, 0xe00740e9
	;; [unrolled: 1-line block ×32, first 2 shown]
	s_waitcnt vmcnt(11) lgkmcnt(11)
	v_mul_f64 v[0:1], v[126:127], v[26:27]
	v_mul_f64 v[180:181], v[124:125], v[26:27]
	s_waitcnt vmcnt(10) lgkmcnt(10)
	v_mul_f64 v[182:183], v[128:129], v[82:83]
	v_fma_f64 v[76:77], v[124:125], v[24:25], -v[0:1]
	v_fmac_f64_e32 v[180:181], v[126:127], v[24:25]
	s_waitcnt vmcnt(6) lgkmcnt(6)
	v_mul_f64 v[190:191], v[148:149], v[118:119]
	v_mul_f64 v[2:3], v[130:131], v[82:83]
	s_waitcnt vmcnt(4) lgkmcnt(4)
	v_mul_f64 v[14:15], v[158:159], v[106:107]
	s_waitcnt vmcnt(3) lgkmcnt(3)
	v_mul_f64 v[196:197], v[160:161], v[122:123]
	v_mul_f64 v[16:17], v[162:163], v[122:123]
	s_waitcnt vmcnt(1) lgkmcnt(1)
	v_mul_f64 v[204:205], v[168:169], v[98:99]
	s_waitcnt vmcnt(0) lgkmcnt(0)
	v_mul_f64 v[22:23], v[174:175], v[94:95]
	v_mul_f64 v[208:209], v[172:173], v[94:95]
	v_fmac_f64_e32 v[196:197], v[162:163], v[120:121]
	v_fma_f64 v[162:163], v[172:173], v[92:93], -v[22:23]
	v_fmac_f64_e32 v[208:209], v[174:175], v[92:93]
	v_mul_f64 v[4:5], v[134:135], v[86:87]
	v_mul_f64 v[188:189], v[144:145], v[102:103]
	;; [unrolled: 1-line block ×8, first 2 shown]
	v_accvgpr_write_b32 a45, v27
	v_fmac_f64_e32 v[182:183], v[130:131], v[80:81]
	v_fmac_f64_e32 v[190:191], v[150:151], v[116:117]
	v_fma_f64 v[150:151], v[156:157], v[104:105], -v[14:15]
	v_fmac_f64_e32 v[204:205], v[170:171], v[96:97]
	v_add_f64 v[232:233], v[76:77], -v[162:163]
	v_add_f64 v[156:157], v[180:181], -v[208:209]
	v_mul_f64 v[8:9], v[146:147], v[102:103]
	v_mul_f64 v[200:201], v[164:165], v[110:111]
	v_accvgpr_write_b32 a44, v26
	v_accvgpr_write_b32 a43, v25
	v_accvgpr_write_b32 a42, v24
	v_fma_f64 v[78:79], v[128:129], v[80:81], -v[2:3]
	v_fma_f64 v[24:25], v[132:133], v[84:85], -v[4:5]
	v_fmac_f64_e32 v[188:189], v[146:147], v[100:101]
	v_fma_f64 v[146:147], v[148:149], v[116:117], -v[10:11]
	v_fma_f64 v[148:149], v[152:153], v[112:113], -v[12:13]
	v_fmac_f64_e32 v[192:193], v[154:155], v[112:113]
	v_fma_f64 v[152:153], v[160:161], v[120:121], -v[16:17]
	v_fma_f64 v[154:155], v[164:165], v[108:109], -v[18:19]
	;; [unrolled: 1-line block ×3, first 2 shown]
	v_add_f64 v[224:225], v[76:77], v[162:163]
	v_mul_f64 v[164:165], v[156:157], s[16:17]
	v_mul_f64 v[4:5], v[232:233], s[16:17]
	v_add_f64 v[248:249], v[182:183], -v[204:205]
	v_mul_f64 v[184:185], v[132:133], v[86:87]
	v_mul_f64 v[6:7], v[142:143], v[90:91]
	v_fmac_f64_e32 v[194:195], v[158:159], v[104:105]
	v_fmac_f64_e32 v[200:201], v[166:167], v[108:109]
	v_add_f64 v[158:159], v[180:181], v[208:209]
	v_add_f64 v[228:229], v[78:79], v[160:161]
	v_add_f64 v[236:237], v[78:79], -v[160:161]
	v_fma_f64 v[2:3], s[0:1], v[224:225], v[164:165]
	v_accvgpr_write_b32 a61, v5
	v_mul_f64 v[166:167], v[248:249], s[20:21]
	v_fmac_f64_e32 v[184:185], v[134:135], v[84:85]
	v_fma_f64 v[28:29], v[140:141], v[88:89], -v[6:7]
	v_fma_f64 v[30:31], v[144:145], v[100:101], -v[8:9]
	v_add_f64 v[0:1], v[182:183], v[204:205]
	v_accvgpr_write_b32 a60, v4
	v_fma_f64 v[4:5], v[158:159], s[0:1], -v[4:5]
	v_add_f64 v[2:3], v[136:137], v[2:3]
	v_mul_f64 v[8:9], v[236:237], s[20:21]
	v_fma_f64 v[6:7], s[10:11], v[228:229], v[166:167]
	v_add_f64 v[4:5], v[138:139], v[4:5]
	v_add_f64 v[2:3], v[6:7], v[2:3]
	v_fma_f64 v[6:7], v[0:1], s[10:11], -v[8:9]
	v_add_f64 v[26:27], v[184:185], -v[200:201]
	v_mul_f64 v[186:187], v[140:141], v[90:91]
	v_accvgpr_write_b32 a63, v9
	v_add_f64 v[4:5], v[6:7], v[4:5]
	v_add_f64 v[254:255], v[24:25], -v[154:155]
	v_mul_f64 v[6:7], v[26:27], s[14:15]
	v_fmac_f64_e32 v[186:187], v[142:143], v[88:89]
	v_accvgpr_write_b32 a62, v8
	v_add_f64 v[240:241], v[24:25], v[154:155]
	v_mul_f64 v[8:9], v[254:255], s[14:15]
	v_accvgpr_write_b32 a65, v7
	v_add_f64 v[178:179], v[184:185], v[200:201]
	v_accvgpr_write_b32 a64, v6
	v_fma_f64 v[6:7], s[12:13], v[240:241], v[6:7]
	v_accvgpr_write_b32 a67, v9
	v_add_f64 v[38:39], v[186:187], -v[196:197]
	v_add_f64 v[2:3], v[6:7], v[2:3]
	v_accvgpr_write_b32 a66, v8
	v_fma_f64 v[6:7], v[178:179], s[12:13], -v[8:9]
	v_mul_f64 v[8:9], v[38:39], s[24:25]
	v_add_f64 v[246:247], v[28:29], v[152:153]
	v_add_f64 v[20:21], v[28:29], -v[152:153]
	v_accvgpr_write_b32 a69, v9
	v_add_f64 v[6:7], v[6:7], v[4:5]
	v_add_f64 v[4:5], v[186:187], v[196:197]
	v_mul_f64 v[10:11], v[20:21], s[24:25]
	v_accvgpr_write_b32 a68, v8
	v_fma_f64 v[8:9], s[18:19], v[246:247], v[8:9]
	v_add_f64 v[2:3], v[8:9], v[2:3]
	v_fma_f64 v[8:9], v[4:5], s[18:19], -v[10:11]
	v_add_f64 v[142:143], v[188:189], -v[194:195]
	v_add_f64 v[6:7], v[8:9], v[6:7]
	v_mul_f64 v[8:9], v[142:143], s[34:35]
	v_add_f64 v[12:13], v[30:31], v[150:151]
	v_accvgpr_write_b32 a73, v9
	v_accvgpr_write_b32 a72, v8
	v_fma_f64 v[8:9], s[26:27], v[12:13], v[8:9]
	v_add_f64 v[170:171], v[30:31], -v[150:151]
	v_add_f64 v[2:3], v[8:9], v[2:3]
	v_mul_f64 v[8:9], v[170:171], s[34:35]
	v_add_f64 v[14:15], v[188:189], v[194:195]
	v_accvgpr_write_b32 a75, v9
	v_accvgpr_write_b32 a74, v8
	v_fma_f64 v[8:9], v[14:15], s[26:27], -v[8:9]
	v_add_f64 v[206:207], v[190:191], -v[192:193]
	v_accvgpr_write_b32 a57, v29
	v_add_f64 v[6:7], v[8:9], v[6:7]
	v_mul_f64 v[8:9], v[206:207], s[38:39]
	v_accvgpr_write_b32 a56, v28
	v_add_f64 v[28:29], v[146:147], v[148:149]
	v_accvgpr_write_b32 a77, v9
	v_accvgpr_write_b32 a76, v8
	v_fma_f64 v[8:9], s[28:29], v[28:29], v[8:9]
	v_add_f64 v[198:199], v[146:147], -v[148:149]
	v_add_f64 v[124:125], v[8:9], v[2:3]
	v_mul_f64 v[2:3], v[198:199], s[38:39]
	v_add_f64 v[32:33], v[190:191], v[192:193]
	v_accvgpr_write_b32 a79, v3
	v_accvgpr_write_b32 a78, v2
	v_fma_f64 v[2:3], v[32:33], s[28:29], -v[2:3]
	v_add_f64 v[126:127], v[2:3], v[6:7]
	v_mul_f64 v[2:3], v[156:157], s[20:21]
	v_accvgpr_write_b32 a81, v3
	v_mul_f64 v[6:7], v[248:249], s[24:25]
	v_accvgpr_write_b32 a80, v2
	v_fma_f64 v[2:3], s[10:11], v[224:225], v[2:3]
	v_accvgpr_write_b32 a83, v7
	v_add_f64 v[2:3], v[136:137], v[2:3]
	v_accvgpr_write_b32 a82, v6
	v_fma_f64 v[6:7], s[18:19], v[228:229], v[6:7]
	v_add_f64 v[8:9], v[6:7], v[2:3]
	v_mul_f64 v[2:3], v[232:233], s[20:21]
	v_accvgpr_write_b32 a71, v11
	v_accvgpr_write_b32 a89, v3
	;; [unrolled: 1-line block ×4, first 2 shown]
	v_fma_f64 v[2:3], v[158:159], s[10:11], -v[2:3]
	v_mul_f64 v[10:11], v[236:237], s[24:25]
	v_add_f64 v[2:3], v[138:139], v[2:3]
	v_fma_f64 v[16:17], v[0:1], s[18:19], -v[10:11]
	v_mul_f64 v[6:7], v[26:27], s[38:39]
	v_accvgpr_write_b32 a55, v25
	v_add_f64 v[16:17], v[16:17], v[2:3]
	v_fma_f64 v[18:19], s[28:29], v[240:241], v[6:7]
	v_mul_f64 v[2:3], v[38:39], s[30:31]
	v_accvgpr_write_b32 a54, v24
	v_add_f64 v[22:23], v[18:19], v[8:9]
	v_mul_f64 v[18:19], v[254:255], s[38:39]
	v_fma_f64 v[24:25], s[26:27], v[246:247], v[2:3]
	v_accvgpr_write_b32 a59, v31
	v_fma_f64 v[8:9], v[178:179], s[28:29], -v[18:19]
	v_add_f64 v[24:25], v[24:25], v[22:23]
	v_mul_f64 v[22:23], v[20:21], s[30:31]
	v_accvgpr_write_b32 a58, v30
	v_add_f64 v[16:17], v[8:9], v[16:17]
	v_fma_f64 v[30:31], v[4:5], s[26:27], -v[22:23]
	v_add_f64 v[34:35], v[30:31], v[16:17]
	v_mul_f64 v[16:17], v[142:143], s[40:41]
	v_fma_f64 v[30:31], s[12:13], v[12:13], v[16:17]
	v_add_f64 v[36:37], v[30:31], v[24:25]
	v_mul_f64 v[30:31], v[170:171], s[40:41]
	v_fma_f64 v[24:25], v[14:15], s[12:13], -v[30:31]
	v_add_f64 v[130:131], v[24:25], v[34:35]
	v_mul_f64 v[24:25], v[206:207], s[36:37]
	v_fma_f64 v[34:35], s[0:1], v[28:29], v[24:25]
	v_add_f64 v[128:129], v[34:35], v[36:37]
	v_mul_f64 v[34:35], v[198:199], s[36:37]
	v_fma_f64 v[36:37], v[32:33], s[0:1], -v[34:35]
	v_add_f64 v[130:131], v[36:37], v[130:131]
	v_mul_f64 v[36:37], v[156:157], s[14:15]
	v_fma_f64 v[132:133], s[12:13], v[224:225], v[36:37]
	v_mul_f64 v[168:169], v[248:249], s[38:39]
	v_add_f64 v[132:133], v[136:137], v[132:133]
	v_fma_f64 v[134:135], s[28:29], v[228:229], v[168:169]
	v_mul_f64 v[174:175], v[232:233], s[14:15]
	v_add_f64 v[132:133], v[134:135], v[132:133]
	v_fma_f64 v[134:135], v[158:159], s[12:13], -v[174:175]
	v_mul_f64 v[222:223], v[236:237], s[38:39]
	v_add_f64 v[134:135], v[138:139], v[134:135]
	v_fma_f64 v[140:141], v[0:1], s[28:29], -v[222:223]
	v_mul_f64 v[172:173], v[26:27], s[42:43]
	v_add_f64 v[134:135], v[140:141], v[134:135]
	v_fma_f64 v[140:141], s[18:19], v[240:241], v[172:173]
	v_mul_f64 v[230:231], v[254:255], s[42:43]
	v_add_f64 v[132:133], v[140:141], v[132:133]
	v_fma_f64 v[140:141], v[178:179], s[18:19], -v[230:231]
	v_mul_f64 v[220:221], v[38:39], s[36:37]
	v_add_f64 v[134:135], v[140:141], v[134:135]
	v_fma_f64 v[140:141], s[0:1], v[246:247], v[220:221]
	;; [unrolled: 6-line block ×3, first 2 shown]
	v_mul_f64 v[238:239], v[170:171], s[20:21]
	v_add_f64 v[132:133], v[140:141], v[132:133]
	v_fma_f64 v[140:141], v[14:15], s[10:11], -v[238:239]
	v_add_f64 v[134:135], v[140:141], v[134:135]
	v_mul_f64 v[140:141], v[206:207], s[34:35]
	v_fma_f64 v[144:145], s[26:27], v[28:29], v[140:141]
	v_mul_f64 v[202:203], v[198:199], s[34:35]
	v_add_f64 v[132:133], v[144:145], v[132:133]
	v_fma_f64 v[144:145], v[32:33], s[26:27], -v[202:203]
	v_add_f64 v[134:135], v[144:145], v[134:135]
	s_and_saveexec_b64 s[22:23], vcc
	s_cbranch_execz .LBB0_5
; %bb.4:
	v_mul_f64 v[8:9], v[224:225], s[0:1]
	v_accvgpr_write_b32 a91, v9
	v_accvgpr_write_b32 a90, v8
	v_mul_f64 v[8:9], v[158:159], s[0:1]
	v_accvgpr_write_b32 a105, v9
	v_accvgpr_write_b32 a104, v8
	;; [unrolled: 3-line block ×6, first 2 shown]
	v_accvgpr_write_b32 a3, v217
	v_accvgpr_write_b32 a4, v218
	;; [unrolled: 1-line block ×3, first 2 shown]
	v_mul_f64 v[218:219], v[158:159], s[28:29]
	s_mov_b32 s45, 0x3fcea1e5
	s_mov_b32 s44, s38
	v_accvgpr_write_b32 a106, v160
	v_accvgpr_write_b32 a124, v8
	v_mul_f64 v[8:9], v[228:229], s[10:11]
	v_accvgpr_write_b32 a0, v214
	v_mul_f64 v[214:215], v[0:1], s[0:1]
	v_accvgpr_write_b32 a107, v161
	v_fma_f64 v[160:161], s[44:45], v[232:233], v[218:219]
	v_accvgpr_write_b32 a10, v250
	v_accvgpr_write_b32 a93, v9
	;; [unrolled: 1-line block ×3, first 2 shown]
	v_mov_b32_e32 v177, v212
	v_mul_f64 v[212:213], v[178:179], s[26:27]
	v_accvgpr_write_b32 a6, v242
	v_fma_f64 v[216:217], s[16:17], v[236:237], v[214:215]
	v_add_f64 v[160:161], v[138:139], v[160:161]
	v_accvgpr_write_b32 a122, v166
	v_accvgpr_write_b32 a11, v251
	;; [unrolled: 1-line block ×4, first 2 shown]
	v_mul_f64 v[250:251], v[156:157], s[38:39]
	v_accvgpr_write_b32 a92, v8
	v_mul_f64 v[8:9], v[0:1], s[10:11]
	v_accvgpr_write_b32 a96, v148
	v_accvgpr_write_b32 a101, v153
	v_mul_f64 v[152:153], v[4:5], s[10:11]
	v_accvgpr_write_b32 a102, v154
	v_accvgpr_write_b32 a7, v243
	;; [unrolled: 1-line block ×4, first 2 shown]
	v_fma_f64 v[242:243], s[30:31], v[254:255], v[212:213]
	v_add_f64 v[160:161], v[216:217], v[160:161]
	v_accvgpr_write_b32 a112, v162
	v_accvgpr_write_b32 a123, v167
	v_mul_f64 v[166:167], v[248:249], s[36:37]
	v_fma_f64 v[252:253], s[28:29], v[224:225], v[250:251]
	v_accvgpr_write_b32 a109, v9
	v_accvgpr_write_b32 a97, v149
	v_mul_f64 v[148:149], v[14:15], s[18:19]
	v_accvgpr_write_b32 a98, v150
	v_accvgpr_write_b32 a103, v155
	v_fma_f64 v[154:155], s[20:21], v[20:21], v[152:153]
	v_add_f64 v[160:161], v[242:243], v[160:161]
	s_mov_b32 s47, 0x3fea55e2
	s_mov_b32 s46, s20
	v_accvgpr_write_b32 a113, v163
	v_mul_f64 v[162:163], v[26:27], s[34:35]
	v_accvgpr_write_b32 a120, v164
	v_fma_f64 v[244:245], s[0:1], v[228:229], v[166:167]
	v_add_f64 v[252:253], v[136:137], v[252:253]
	v_accvgpr_write_b32 a108, v8
	v_mul_f64 v[8:9], v[228:229], s[18:19]
	v_mul_f64 v[144:145], v[32:33], s[12:13]
	v_accvgpr_write_b32 a94, v146
	v_accvgpr_write_b32 a99, v151
	v_fma_f64 v[150:151], s[42:43], v[170:171], v[148:149]
	v_add_f64 v[154:155], v[154:155], v[160:161]
	v_mul_f64 v[216:217], v[38:39], s[46:47]
	v_accvgpr_write_b32 a121, v165
	v_fma_f64 v[164:165], s[26:27], v[240:241], v[162:163]
	v_add_f64 v[244:245], v[244:245], v[252:253]
	v_accvgpr_write_b32 a115, v9
	v_accvgpr_write_b32 a95, v147
	v_fma_f64 v[146:147], s[14:15], v[198:199], v[144:145]
	v_add_f64 v[150:151], v[150:151], v[154:155]
	v_mul_f64 v[154:155], v[142:143], s[24:25]
	v_fma_f64 v[242:243], s[10:11], v[246:247], v[216:217]
	v_add_f64 v[164:165], v[164:165], v[244:245]
	v_accvgpr_write_b32 a114, v8
	v_add_f64 v[8:9], v[146:147], v[150:151]
	v_mul_f64 v[150:151], v[206:207], s[40:41]
	v_fma_f64 v[160:161], s[18:19], v[12:13], v[154:155]
	v_add_f64 v[164:165], v[242:243], v[164:165]
	v_fma_f64 v[146:147], s[12:13], v[28:29], v[150:151]
	v_add_f64 v[160:161], v[160:161], v[164:165]
	v_accvgpr_write_b32 a127, v7
	v_fmac_f64_e32 v[218:219], s[38:39], v[232:233]
	v_accvgpr_write_b32 a126, v6
	v_add_f64 v[6:7], v[146:147], v[160:161]
	v_fmac_f64_e32 v[214:215], s[36:37], v[236:237]
	v_add_f64 v[146:147], v[138:139], v[218:219]
	v_fmac_f64_e32 v[212:213], s[34:35], v[254:255]
	;; [unrolled: 2-line block ×5, first 2 shown]
	v_add_f64 v[146:147], v[148:149], v[146:147]
	v_add_f64 v[146:147], v[144:145], v[146:147]
	v_fma_f64 v[144:145], v[28:29], s[12:13], -v[150:151]
	v_fma_f64 v[150:151], v[246:247], s[10:11], -v[216:217]
	;; [unrolled: 1-line block ×3, first 2 shown]
	v_mul_f64 v[216:217], v[158:159], s[26:27]
	v_fma_f64 v[148:149], v[12:13], s[18:19], -v[154:155]
	v_fma_f64 v[154:155], v[228:229], s[0:1], -v[166:167]
	v_add_f64 v[160:161], v[136:137], v[160:161]
	v_mul_f64 v[212:213], v[0:1], s[12:13]
	v_fma_f64 v[218:219], s[30:31], v[232:233], v[216:217]
	v_fma_f64 v[152:153], v[240:241], s[26:27], -v[162:163]
	v_add_f64 v[154:155], v[154:155], v[160:161]
	v_mul_f64 v[164:165], v[178:179], s[10:11]
	v_fma_f64 v[214:215], s[14:15], v[236:237], v[212:213]
	v_add_f64 v[218:219], v[138:139], v[218:219]
	v_add_f64 v[152:153], v[152:153], v[154:155]
	v_mul_f64 v[160:161], v[4:5], s[28:29]
	v_fma_f64 v[166:167], s[46:47], v[254:255], v[164:165]
	v_add_f64 v[214:215], v[214:215], v[218:219]
	;; [unrolled: 4-line block ×4, first 2 shown]
	v_mul_f64 v[244:245], v[156:157], s[34:35]
	v_fmac_f64_e32 v[216:217], s[34:35], v[232:233]
	v_add_f64 v[144:145], v[144:145], v[148:149]
	v_fma_f64 v[148:149], s[42:43], v[198:199], v[152:153]
	v_add_f64 v[150:151], v[150:151], v[162:163]
	v_mul_f64 v[242:243], v[248:249], s[40:41]
	v_fma_f64 v[250:251], s[26:27], v[224:225], v[244:245]
	v_fmac_f64_e32 v[212:213], s[40:41], v[236:237]
	v_add_f64 v[216:217], v[138:139], v[216:217]
	v_add_f64 v[150:151], v[148:149], v[150:151]
	v_mul_f64 v[218:219], v[26:27], s[20:21]
	v_fma_f64 v[148:149], s[12:13], v[228:229], v[242:243]
	v_add_f64 v[250:251], v[136:137], v[250:251]
	v_add_f64 v[212:213], v[212:213], v[216:217]
	v_fmac_f64_e32 v[164:165], s[20:21], v[254:255]
	v_mul_f64 v[214:215], v[38:39], s[44:45]
	v_add_f64 v[148:149], v[148:149], v[250:251]
	v_fma_f64 v[250:251], s[10:11], v[240:241], v[218:219]
	v_add_f64 v[164:165], v[164:165], v[212:213]
	v_fmac_f64_e32 v[160:161], s[44:45], v[20:21]
	v_mul_f64 v[166:167], v[142:143], s[36:37]
	v_add_f64 v[148:149], v[250:251], v[148:149]
	v_fma_f64 v[250:251], s[28:29], v[246:247], v[214:215]
	;; [unrolled: 5-line block ×3, first 2 shown]
	v_fmac_f64_e32 v[152:153], s[24:25], v[198:199]
	v_add_f64 v[154:155], v[154:155], v[160:161]
	v_add_f64 v[148:149], v[250:251], v[148:149]
	v_fma_f64 v[250:251], s[18:19], v[28:29], v[162:163]
	v_add_f64 v[154:155], v[152:153], v[154:155]
	v_fma_f64 v[152:153], v[28:29], s[18:19], -v[162:163]
	v_fma_f64 v[162:163], v[246:247], s[28:29], -v[214:215]
	;; [unrolled: 1-line block ×5, first 2 shown]
	v_add_f64 v[214:215], v[136:137], v[214:215]
	v_mul_f64 v[244:245], v[158:159], s[18:19]
	v_add_f64 v[148:149], v[250:251], v[148:149]
	v_mul_f64 v[250:251], v[0:1], s[18:19]
	v_mul_f64 v[216:217], v[0:1], s[28:29]
	v_fma_f64 v[164:165], v[240:241], s[10:11], -v[218:219]
	v_add_f64 v[166:167], v[166:167], v[214:215]
	v_mul_f64 v[0:1], v[0:1], s[26:27]
	v_fma_f64 v[158:159], s[42:43], v[232:233], v[244:245]
	v_add_f64 v[164:165], v[164:165], v[166:167]
	v_mul_f64 v[218:219], v[178:179], s[0:1]
	v_fma_f64 v[242:243], s[34:35], v[236:237], v[0:1]
	v_add_f64 v[158:159], v[138:139], v[158:159]
	v_add_f64 v[162:163], v[162:163], v[164:165]
	v_mul_f64 v[214:215], v[4:5], s[12:13]
	v_add_f64 v[158:159], v[242:243], v[158:159]
	v_fma_f64 v[242:243], s[16:17], v[254:255], v[218:219]
	v_add_f64 v[160:161], v[160:161], v[162:163]
	v_mul_f64 v[164:165], v[14:15], s[28:29]
	v_add_f64 v[158:159], v[242:243], v[158:159]
	v_fma_f64 v[242:243], s[40:41], v[20:21], v[214:215]
	v_add_f64 v[152:153], v[152:153], v[160:161]
	v_mul_f64 v[160:161], v[32:33], s[10:11]
	v_fma_f64 v[166:167], s[38:39], v[170:171], v[164:165]
	v_add_f64 v[158:159], v[242:243], v[158:159]
	v_mul_f64 v[242:243], v[156:157], s[24:25]
	v_fmac_f64_e32 v[244:245], s[24:25], v[232:233]
	v_fma_f64 v[162:163], s[20:21], v[198:199], v[160:161]
	v_add_f64 v[158:159], v[166:167], v[158:159]
	v_mul_f64 v[166:167], v[248:249], s[30:31]
	v_fma_f64 v[156:157], s[18:19], v[224:225], v[242:243]
	v_fmac_f64_e32 v[0:1], s[30:31], v[236:237]
	v_add_f64 v[244:245], v[138:139], v[244:245]
	v_add_f64 v[158:159], v[162:163], v[158:159]
	v_mul_f64 v[162:163], v[206:207], s[46:47]
	v_mul_f64 v[26:27], v[26:27], s[36:37]
	v_fma_f64 v[206:207], s[26:27], v[228:229], v[166:167]
	v_add_f64 v[156:157], v[136:137], v[156:157]
	v_fmac_f64_e32 v[218:219], s[36:37], v[254:255]
	v_add_f64 v[0:1], v[0:1], v[244:245]
	v_mul_f64 v[38:39], v[38:39], s[14:15]
	v_add_f64 v[156:157], v[206:207], v[156:157]
	v_fma_f64 v[206:207], s[0:1], v[240:241], v[26:27]
	v_fmac_f64_e32 v[214:215], s[14:15], v[20:21]
	v_add_f64 v[0:1], v[218:219], v[0:1]
	v_mul_f64 v[142:143], v[142:143], s[44:45]
	v_add_f64 v[156:157], v[206:207], v[156:157]
	v_fma_f64 v[206:207], s[12:13], v[246:247], v[38:39]
	v_fmac_f64_e32 v[164:165], s[44:45], v[170:171]
	v_add_f64 v[0:1], v[214:215], v[0:1]
	v_accvgpr_write_b32 a46, v80
	v_add_f64 v[156:157], v[206:207], v[156:157]
	v_fma_f64 v[206:207], s[28:29], v[12:13], v[142:143]
	v_mul_f64 v[218:219], v[12:13], s[26:27]
	v_add_f64 v[0:1], v[164:165], v[0:1]
	v_mul_f64 v[164:165], v[12:13], s[12:13]
	v_fma_f64 v[142:143], v[12:13], s[28:29], -v[142:143]
	v_accvgpr_write_b32 a47, v81
	v_accvgpr_write_b32 a48, v82
	;; [unrolled: 1-line block ×3, first 2 shown]
	v_mov_b64_e32 v[80:81], v[76:77]
	v_mul_f64 v[76:77], v[12:13], s[10:11]
	v_accvgpr_write_b32 a50, v84
	v_fma_f64 v[12:13], v[240:241], s[0:1], -v[26:27]
	v_fma_f64 v[26:27], v[224:225], s[18:19], -v[242:243]
	v_accvgpr_write_b32 a87, v9
	v_mul_f64 v[20:21], v[246:247], s[18:19]
	v_mul_f64 v[236:237], v[246:247], s[26:27]
	;; [unrolled: 1-line block ×4, first 2 shown]
	v_fma_f64 v[38:39], v[246:247], s[12:13], -v[38:39]
	v_mul_f64 v[246:247], v[14:15], s[12:13]
	v_accvgpr_write_b32 a51, v85
	v_accvgpr_write_b32 a52, v86
	;; [unrolled: 1-line block ×3, first 2 shown]
	v_mov_b64_e32 v[84:85], v[78:79]
	v_mul_f64 v[78:79], v[14:15], s[10:11]
	v_fma_f64 v[14:15], v[228:229], s[26:27], -v[166:167]
	v_add_f64 v[26:27], v[136:137], v[26:27]
	v_accvgpr_write_b32 a86, v8
	v_accvgpr_write_b32 a85, v7
	;; [unrolled: 1-line block ×3, first 2 shown]
	v_fmac_f64_e32 v[160:161], s[46:47], v[198:199]
	v_add_f64 v[26:27], v[14:15], v[26:27]
	v_accvgpr_read_b32 v6, a124
	v_add_f64 v[14:15], v[160:161], v[0:1]
	v_add_f64 v[0:1], v[12:13], v[26:27]
	v_accvgpr_read_b32 v7, a125
	v_add_f64 v[156:157], v[206:207], v[156:157]
	v_fma_f64 v[206:207], s[10:11], v[28:29], v[162:163]
	v_add_f64 v[0:1], v[38:39], v[0:1]
	v_add_f64 v[38:39], v[174:175], v[6:7]
	v_accvgpr_read_b32 v6, a118
	v_mul_f64 v[252:253], v[228:229], s[28:29]
	v_mul_f64 v[212:213], v[240:241], s[12:13]
	v_add_f64 v[156:157], v[206:207], v[156:157]
	v_mul_f64 v[206:207], v[178:179], s[12:13]
	v_mul_f64 v[248:249], v[240:241], s[28:29]
	;; [unrolled: 1-line block ×9, first 2 shown]
	v_fma_f64 v[162:163], v[28:29], s[10:11], -v[162:163]
	v_mul_f64 v[242:243], v[28:29], s[26:27]
	v_mul_f64 v[28:29], v[32:33], s[26:27]
	v_add_f64 v[0:1], v[142:143], v[0:1]
	v_add_f64 v[32:33], v[222:223], v[216:217]
	v_add_f64 v[38:39], v[138:139], v[38:39]
	v_accvgpr_read_b32 v7, a119
	v_mul_f64 v[254:255], v[4:5], s[18:19]
	v_mul_f64 v[232:233], v[4:5], s[26:27]
	;; [unrolled: 1-line block ×3, first 2 shown]
	v_add_f64 v[12:13], v[162:163], v[0:1]
	v_add_f64 v[0:1], v[202:203], v[28:29]
	;; [unrolled: 1-line block ×4, first 2 shown]
	v_add_f64 v[36:37], v[6:7], -v[36:37]
	v_accvgpr_read_b32 v6, a88
	v_accvgpr_read_b32 v8, a116
	v_add_f64 v[4:5], v[234:235], v[4:5]
	v_add_f64 v[28:29], v[28:29], v[32:33]
	v_add_f64 v[38:39], v[252:253], -v[168:169]
	v_add_f64 v[36:37], v[136:137], v[36:37]
	v_accvgpr_read_b32 v7, a89
	v_accvgpr_read_b32 v9, a117
	v_add_f64 v[26:27], v[238:239], v[78:79]
	v_add_f64 v[4:5], v[4:5], v[28:29]
	v_add_f64 v[32:33], v[170:171], -v[172:173]
	v_add_f64 v[36:37], v[38:39], v[36:37]
	v_add_f64 v[6:7], v[6:7], v[8:9]
	;; [unrolled: 1-line block ×3, first 2 shown]
	v_add_f64 v[26:27], v[244:245], -v[220:221]
	v_add_f64 v[32:33], v[32:33], v[36:37]
	v_add_f64 v[10:11], v[10:11], v[250:251]
	;; [unrolled: 1-line block ×4, first 2 shown]
	v_add_f64 v[4:5], v[76:77], -v[226:227]
	v_add_f64 v[26:27], v[26:27], v[32:33]
	v_add_f64 v[18:19], v[18:19], v[198:199]
	;; [unrolled: 1-line block ×3, first 2 shown]
	v_add_f64 v[0:1], v[242:243], -v[140:141]
	v_add_f64 v[4:5], v[4:5], v[26:27]
	v_add_f64 v[22:23], v[22:23], v[232:233]
	;; [unrolled: 1-line block ×7, first 2 shown]
	v_add_f64 v[6:7], v[164:165], -v[16:17]
	v_accvgpr_read_b32 v10, a82
	v_accvgpr_read_b32 v16, a114
	;; [unrolled: 1-line block ×4, first 2 shown]
	v_add_f64 v[10:11], v[16:17], -v[10:11]
	v_accvgpr_read_b32 v16, a80
	v_accvgpr_read_b32 v18, a110
	;; [unrolled: 1-line block ×4, first 2 shown]
	v_add_f64 v[16:17], v[18:19], -v[16:17]
	v_add_f64 v[16:17], v[136:137], v[16:17]
	v_add_f64 v[10:11], v[10:11], v[16:17]
	v_accvgpr_read_b32 v16, a62
	v_accvgpr_read_b32 v18, a108
	v_add_f64 v[8:9], v[236:237], -v[2:3]
	v_accvgpr_read_b32 v2, a126
	v_accvgpr_read_b32 v17, a63
	;; [unrolled: 1-line block ×4, first 2 shown]
	v_add_f64 v[16:17], v[16:17], v[18:19]
	v_accvgpr_read_b32 v18, a60
	v_accvgpr_read_b32 v22, a104
	v_add_f64 v[2:3], v[248:249], -v[2:3]
	v_accvgpr_read_b32 v19, a61
	v_accvgpr_read_b32 v23, a105
	v_add_f64 v[2:3], v[2:3], v[10:11]
	v_accvgpr_read_b32 v10, a66
	v_add_f64 v[18:19], v[18:19], v[22:23]
	v_add_f64 v[2:3], v[8:9], v[2:3]
	v_accvgpr_read_b32 v8, a70
	v_accvgpr_read_b32 v11, a67
	v_add_f64 v[18:19], v[138:139], v[18:19]
	v_accvgpr_read_b32 v9, a71
	v_add_f64 v[10:11], v[10:11], v[206:207]
	v_add_f64 v[16:17], v[16:17], v[18:19]
	v_add_f64 v[8:9], v[8:9], v[254:255]
	v_add_f64 v[10:11], v[10:11], v[16:17]
	v_add_f64 v[8:9], v[8:9], v[10:11]
	v_accvgpr_read_b32 v10, a68
	v_accvgpr_read_b32 v11, a69
	v_add_f64 v[10:11], v[20:21], -v[10:11]
	v_accvgpr_read_b32 v18, a92
	v_accvgpr_read_b32 v20, a122
	v_add_f64 v[0:1], v[34:35], v[228:229]
	v_accvgpr_read_b32 v19, a93
	v_accvgpr_read_b32 v21, a123
	v_add_f64 v[4:5], v[0:1], v[4:5]
	v_add_f64 v[0:1], v[224:225], -v[24:25]
	v_add_f64 v[2:3], v[6:7], v[2:3]
	v_accvgpr_read_b32 v6, a74
	v_add_f64 v[18:19], v[18:19], -v[20:21]
	v_accvgpr_read_b32 v20, a90
	v_accvgpr_read_b32 v22, a120
	v_add_f64 v[2:3], v[0:1], v[2:3]
	v_accvgpr_read_b32 v0, a78
	v_accvgpr_read_b32 v7, a75
	;; [unrolled: 1-line block ×5, first 2 shown]
	v_add_f64 v[6:7], v[6:7], v[214:215]
	v_accvgpr_read_b32 v16, a64
	v_add_f64 v[20:21], v[20:21], -v[22:23]
	v_add_f64 v[0:1], v[0:1], v[166:167]
	v_add_f64 v[6:7], v[6:7], v[8:9]
	v_accvgpr_read_b32 v17, a65
	v_add_f64 v[20:21], v[136:137], v[20:21]
	v_add_f64 v[8:9], v[0:1], v[6:7]
	v_accvgpr_read_b32 v6, a72
	v_add_f64 v[16:17], v[212:213], -v[16:17]
	v_add_f64 v[18:19], v[18:19], v[20:21]
	v_accvgpr_read_b32 v0, a76
	v_accvgpr_read_b32 v7, a73
	v_add_f64 v[16:17], v[16:17], v[18:19]
	v_accvgpr_read_b32 v1, a77
	v_add_f64 v[6:7], v[218:219], -v[6:7]
	v_add_f64 v[10:11], v[10:11], v[16:17]
	v_add_f64 v[0:1], v[240:241], -v[0:1]
	v_add_f64 v[6:7], v[6:7], v[10:11]
	v_add_f64 v[6:7], v[0:1], v[6:7]
	;; [unrolled: 1-line block ×15, first 2 shown]
	v_accvgpr_read_b32 v10, a54
	v_add_f64 v[0:1], v[0:1], v[84:85]
	v_accvgpr_read_b32 v11, a55
	v_add_f64 v[0:1], v[0:1], v[10:11]
	v_accvgpr_read_b32 v10, a56
	v_accvgpr_read_b32 v11, a57
	v_add_f64 v[0:1], v[0:1], v[10:11]
	v_accvgpr_read_b32 v10, a58
	;; [unrolled: 3-line block ×9, first 2 shown]
	v_accvgpr_read_b32 v245, a9
	v_accvgpr_read_b32 v253, a13
	;; [unrolled: 1-line block ×16, first 2 shown]
	v_mov_b32_e32 v212, v177
	v_accvgpr_read_b32 v82, a48
	v_accvgpr_read_b32 v81, a47
	;; [unrolled: 1-line block ×6, first 2 shown]
	v_add_f64 v[16:17], v[0:1], v[10:11]
	ds_write_b128 v176, v[16:19]
	ds_write_b128 v176, v[6:9] offset:1600
	ds_write_b128 v176, v[2:5] offset:3200
	;; [unrolled: 1-line block ×12, first 2 shown]
.LBB0_5:
	s_or_b64 exec, exec, s[22:23]
	v_mov_b32_e32 v177, 0
	v_lshl_add_u64 v[0:1], s[8:9], 0, v[176:177]
	s_mov_b64 s[0:1], 0x5140
	v_lshl_add_u64 v[2:3], v[0:1], 0, s[0:1]
	s_movk_i32 s0, 0x5000
	v_add_co_u32_e64 v4, s[0:1], s0, v0
	s_waitcnt lgkmcnt(0)
	s_nop 0
	v_addc_co_u32_e64 v5, s[0:1], 0, v1, s[0:1]
	s_movk_i32 s0, 0x6000
	s_barrier
	global_load_dwordx4 v[136:139], v[4:5], off offset:320
	global_load_dwordx4 v[140:143], v[2:3], off offset:2080
	v_add_co_u32_e64 v2, s[0:1], s0, v0
	s_mov_b32 s12, 0x134454ff
	s_nop 0
	v_addc_co_u32_e64 v3, s[0:1], 0, v1, s[0:1]
	s_movk_i32 s0, 0x7000
	s_nop 0
	v_add_co_u32_e64 v10, s[0:1], s0, v0
	global_load_dwordx4 v[144:147], v[2:3], off offset:384
	s_nop 0
	global_load_dwordx4 v[2:5], v[2:3], off offset:2464
	v_addc_co_u32_e64 v11, s[0:1], 0, v1, s[0:1]
	s_mov_b32 s0, 0x8000
	s_nop 0
	v_add_co_u32_e64 v18, s[0:1], s0, v0
	global_load_dwordx4 v[6:9], v[10:11], off offset:448
	s_nop 0
	global_load_dwordx4 v[10:13], v[10:11], off offset:2528
	v_addc_co_u32_e64 v19, s[0:1], 0, v1, s[0:1]
	global_load_dwordx4 v[14:17], v[18:19], off offset:512
	s_nop 0
	global_load_dwordx4 v[18:21], v[18:19], off offset:2592
	s_mov_b32 s0, 0x9000
	v_add_co_u32_e64 v0, s[0:1], s0, v0
	s_mov_b32 s13, 0xbfee6f0e
	s_nop 0
	v_addc_co_u32_e64 v1, s[0:1], 0, v1, s[0:1]
	global_load_dwordx4 v[22:25], v[0:1], off offset:576
	global_load_dwordx4 v[26:29], v[0:1], off offset:2656
	ds_read_b128 v[30:33], v176
	ds_read_b128 v[34:37], v176 offset:2080
	ds_read_b128 v[148:151], v176 offset:4160
	;; [unrolled: 1-line block ×7, first 2 shown]
	s_mov_b32 s14, 0x4755a5e
	s_mov_b32 s9, 0x3fee6f0e
	s_mov_b32 s8, s12
	s_mov_b32 s15, 0xbfe2cf23
	s_mov_b32 s10, 0x372fe950
	s_mov_b32 s1, 0x3fe2cf23
	s_mov_b32 s0, s14
	s_mov_b32 s11, 0x3fd3c6ef
	s_mov_b32 s16, 0x9b97f4a8
	s_mov_b32 s19, 0xbfd3c6ef
	s_mov_b32 s18, s10
	s_mov_b32 s17, 0x3fe9e377
	s_mov_b32 s21, 0xbfe9e377
	s_mov_b32 s20, s16
	s_waitcnt vmcnt(9) lgkmcnt(7)
	v_mul_f64 v[0:1], v[32:33], v[138:139]
	v_mul_f64 v[174:175], v[30:31], v[138:139]
	s_waitcnt vmcnt(8) lgkmcnt(6)
	v_mul_f64 v[76:77], v[36:37], v[142:143]
	v_mul_f64 v[138:139], v[34:35], v[142:143]
	v_fma_f64 v[172:173], v[30:31], v[136:137], -v[0:1]
	v_fmac_f64_e32 v[174:175], v[32:33], v[136:137]
	v_fma_f64 v[136:137], v[34:35], v[140:141], -v[76:77]
	v_fmac_f64_e32 v[138:139], v[36:37], v[140:141]
	s_waitcnt vmcnt(7) lgkmcnt(5)
	v_mul_f64 v[78:79], v[150:151], v[146:147]
	v_mul_f64 v[38:39], v[148:149], v[146:147]
	s_waitcnt vmcnt(6) lgkmcnt(4)
	v_mul_f64 v[146:147], v[154:155], v[4:5]
	v_mul_f64 v[142:143], v[152:153], v[4:5]
	v_fma_f64 v[140:141], v[152:153], v[2:3], -v[146:147]
	v_fmac_f64_e32 v[142:143], v[154:155], v[2:3]
	s_waitcnt vmcnt(5) lgkmcnt(3)
	v_mul_f64 v[178:179], v[158:159], v[8:9]
	v_mul_f64 v[4:5], v[156:157], v[8:9]
	s_waitcnt vmcnt(4) lgkmcnt(2)
	v_mul_f64 v[180:181], v[162:163], v[12:13]
	v_mul_f64 v[8:9], v[160:161], v[12:13]
	;; [unrolled: 3-line block ×3, first 2 shown]
	v_fma_f64 v[2:3], v[156:157], v[6:7], -v[178:179]
	v_fma_f64 v[36:37], v[148:149], v[144:145], -v[78:79]
	v_fmac_f64_e32 v[38:39], v[150:151], v[144:145]
	v_fmac_f64_e32 v[4:5], v[158:159], v[6:7]
	v_fma_f64 v[6:7], v[160:161], v[10:11], -v[180:181]
	v_fmac_f64_e32 v[8:9], v[162:163], v[10:11]
	v_fma_f64 v[10:11], v[164:165], v[14:15], -v[182:183]
	v_fmac_f64_e32 v[12:13], v[166:167], v[14:15]
	ds_write_b128 v176, v[172:175]
	ds_write_b128 v176, v[136:139] offset:2080
	ds_write_b128 v176, v[36:39] offset:4160
	;; [unrolled: 1-line block ×6, first 2 shown]
	s_waitcnt vmcnt(2) lgkmcnt(7)
	v_mul_f64 v[0:1], v[170:171], v[20:21]
	v_mul_f64 v[2:3], v[168:169], v[20:21]
	v_fma_f64 v[0:1], v[168:169], v[18:19], -v[0:1]
	ds_read_b128 v[4:7], v176 offset:16640
	v_fmac_f64_e32 v[2:3], v[170:171], v[18:19]
	ds_write_b128 v176, v[0:3] offset:14560
	ds_read_b128 v[0:3], v176 offset:18720
	s_waitcnt vmcnt(1) lgkmcnt(2)
	v_mul_f64 v[8:9], v[6:7], v[24:25]
	v_mul_f64 v[10:11], v[4:5], v[24:25]
	v_fma_f64 v[8:9], v[4:5], v[22:23], -v[8:9]
	v_fmac_f64_e32 v[10:11], v[6:7], v[22:23]
	s_waitcnt vmcnt(0) lgkmcnt(0)
	v_mul_f64 v[4:5], v[2:3], v[28:29]
	v_mul_f64 v[6:7], v[0:1], v[28:29]
	v_fma_f64 v[4:5], v[0:1], v[26:27], -v[4:5]
	v_fmac_f64_e32 v[6:7], v[2:3], v[26:27]
	ds_write_b128 v176, v[8:11] offset:16640
	ds_write_b128 v176, v[4:7] offset:18720
	s_waitcnt lgkmcnt(0)
	s_barrier
	ds_read_b128 v[136:139], v176
	ds_read_b128 v[140:143], v176 offset:2080
	ds_read_b128 v[0:3], v176 offset:4160
	;; [unrolled: 1-line block ×9, first 2 shown]
	s_waitcnt lgkmcnt(5)
	v_add_f64 v[78:79], v[0:1], -v[8:9]
	s_waitcnt lgkmcnt(3)
	v_add_f64 v[34:35], v[8:9], v[16:17]
	v_fma_f64 v[34:35], -0.5, v[34:35], v[136:137]
	s_waitcnt lgkmcnt(1)
	v_add_f64 v[36:37], v[2:3], -v[26:27]
	v_fma_f64 v[38:39], s[12:13], v[36:37], v[34:35]
	v_add_f64 v[76:77], v[10:11], -v[18:19]
	v_add_f64 v[144:145], v[24:25], -v[16:17]
	v_fmac_f64_e32 v[34:35], s[8:9], v[36:37]
	v_fmac_f64_e32 v[38:39], s[14:15], v[76:77]
	v_add_f64 v[78:79], v[78:79], v[144:145]
	v_fmac_f64_e32 v[34:35], s[0:1], v[76:77]
	v_fmac_f64_e32 v[38:39], s[10:11], v[78:79]
	v_fmac_f64_e32 v[34:35], s[10:11], v[78:79]
	v_add_f64 v[78:79], v[0:1], v[24:25]
	v_add_f64 v[32:33], v[136:137], v[0:1]
	v_fmac_f64_e32 v[136:137], -0.5, v[78:79]
	v_fma_f64 v[78:79], s[8:9], v[76:77], v[136:137]
	v_fmac_f64_e32 v[136:137], s[12:13], v[76:77]
	v_fmac_f64_e32 v[78:79], s[14:15], v[36:37]
	;; [unrolled: 1-line block ×3, first 2 shown]
	v_add_f64 v[36:37], v[138:139], v[2:3]
	v_add_f64 v[36:37], v[36:37], v[10:11]
	v_add_f64 v[144:145], v[8:9], -v[0:1]
	v_add_f64 v[146:147], v[16:17], -v[24:25]
	v_add_f64 v[36:37], v[36:37], v[18:19]
	v_add_f64 v[32:33], v[32:33], v[8:9]
	;; [unrolled: 1-line block ×6, first 2 shown]
	v_fmac_f64_e32 v[78:79], s[10:11], v[144:145]
	v_fmac_f64_e32 v[136:137], s[10:11], v[144:145]
	v_fma_f64 v[144:145], -0.5, v[36:37], v[138:139]
	v_add_f64 v[0:1], v[0:1], -v[24:25]
	v_add_f64 v[32:33], v[32:33], v[24:25]
	v_fma_f64 v[146:147], s[8:9], v[0:1], v[144:145]
	v_add_f64 v[8:9], v[8:9], -v[16:17]
	v_add_f64 v[16:17], v[2:3], -v[10:11]
	;; [unrolled: 1-line block ×3, first 2 shown]
	v_fmac_f64_e32 v[144:145], s[12:13], v[0:1]
	v_fmac_f64_e32 v[146:147], s[0:1], v[8:9]
	v_add_f64 v[16:17], v[16:17], v[24:25]
	v_fmac_f64_e32 v[144:145], s[14:15], v[8:9]
	v_fmac_f64_e32 v[146:147], s[10:11], v[16:17]
	;; [unrolled: 1-line block ×3, first 2 shown]
	v_add_f64 v[16:17], v[2:3], v[26:27]
	v_fmac_f64_e32 v[138:139], -0.5, v[16:17]
	v_fma_f64 v[148:149], s[12:13], v[8:9], v[138:139]
	v_fmac_f64_e32 v[138:139], s[8:9], v[8:9]
	v_fmac_f64_e32 v[148:149], s[0:1], v[0:1]
	;; [unrolled: 1-line block ×3, first 2 shown]
	v_add_f64 v[0:1], v[140:141], v[4:5]
	v_add_f64 v[0:1], v[0:1], v[12:13]
	v_add_f64 v[0:1], v[0:1], v[20:21]
	v_add_f64 v[2:3], v[10:11], -v[2:3]
	v_add_f64 v[10:11], v[18:19], -v[26:27]
	s_waitcnt lgkmcnt(0)
	v_add_f64 v[24:25], v[0:1], v[28:29]
	v_add_f64 v[0:1], v[12:13], v[20:21]
	;; [unrolled: 1-line block ×3, first 2 shown]
	v_fma_f64 v[18:19], -0.5, v[0:1], v[140:141]
	v_add_f64 v[0:1], v[6:7], -v[30:31]
	v_fmac_f64_e32 v[148:149], s[10:11], v[2:3]
	v_fmac_f64_e32 v[138:139], s[10:11], v[2:3]
	v_fma_f64 v[10:11], s[12:13], v[0:1], v[18:19]
	v_add_f64 v[2:3], v[14:15], -v[22:23]
	v_add_f64 v[8:9], v[4:5], -v[12:13]
	;; [unrolled: 1-line block ×3, first 2 shown]
	v_fmac_f64_e32 v[18:19], s[8:9], v[0:1]
	v_fmac_f64_e32 v[10:11], s[14:15], v[2:3]
	v_add_f64 v[8:9], v[8:9], v[16:17]
	v_fmac_f64_e32 v[18:19], s[0:1], v[2:3]
	v_fmac_f64_e32 v[10:11], s[10:11], v[8:9]
	v_fmac_f64_e32 v[18:19], s[10:11], v[8:9]
	v_add_f64 v[8:9], v[4:5], v[28:29]
	v_fmac_f64_e32 v[140:141], -0.5, v[8:9]
	v_fma_f64 v[26:27], s[8:9], v[2:3], v[140:141]
	v_fmac_f64_e32 v[140:141], s[12:13], v[2:3]
	v_fmac_f64_e32 v[26:27], s[14:15], v[0:1]
	;; [unrolled: 1-line block ×3, first 2 shown]
	v_add_f64 v[0:1], v[142:143], v[6:7]
	v_add_f64 v[0:1], v[0:1], v[14:15]
	v_add_f64 v[0:1], v[0:1], v[22:23]
	v_add_f64 v[8:9], v[12:13], -v[4:5]
	v_add_f64 v[16:17], v[20:21], -v[28:29]
	v_add_f64 v[150:151], v[0:1], v[30:31]
	v_add_f64 v[0:1], v[14:15], v[22:23]
	;; [unrolled: 1-line block ×3, first 2 shown]
	v_fma_f64 v[36:37], -0.5, v[0:1], v[142:143]
	v_add_f64 v[0:1], v[4:5], -v[28:29]
	v_fmac_f64_e32 v[26:27], s[10:11], v[8:9]
	v_fmac_f64_e32 v[140:141], s[10:11], v[8:9]
	v_fma_f64 v[28:29], s[8:9], v[0:1], v[36:37]
	v_add_f64 v[2:3], v[12:13], -v[20:21]
	v_add_f64 v[4:5], v[6:7], -v[14:15]
	;; [unrolled: 1-line block ×3, first 2 shown]
	v_fmac_f64_e32 v[36:37], s[12:13], v[0:1]
	v_fmac_f64_e32 v[28:29], s[0:1], v[2:3]
	v_add_f64 v[4:5], v[4:5], v[8:9]
	v_fmac_f64_e32 v[36:37], s[14:15], v[2:3]
	v_fmac_f64_e32 v[28:29], s[10:11], v[4:5]
	;; [unrolled: 1-line block ×3, first 2 shown]
	v_add_f64 v[4:5], v[6:7], v[30:31]
	v_fmac_f64_e32 v[142:143], -0.5, v[4:5]
	v_fma_f64 v[20:21], s[12:13], v[2:3], v[142:143]
	v_add_f64 v[4:5], v[14:15], -v[6:7]
	v_add_f64 v[6:7], v[22:23], -v[30:31]
	v_fmac_f64_e32 v[142:143], s[8:9], v[2:3]
	v_add_f64 v[4:5], v[4:5], v[6:7]
	v_fmac_f64_e32 v[142:143], s[14:15], v[0:1]
	v_fmac_f64_e32 v[20:21], s[0:1], v[0:1]
	;; [unrolled: 1-line block ×4, first 2 shown]
	v_mul_f64 v[152:153], v[142:143], s[12:13]
	v_mul_f64 v[142:143], v[142:143], s[18:19]
	v_mul_f64 v[22:23], v[28:29], s[14:15]
	v_mul_f64 v[30:31], v[20:21], s[12:13]
	v_fmac_f64_e32 v[152:153], s[18:19], v[140:141]
	v_mul_f64 v[154:155], v[36:37], s[14:15]
	v_mul_f64 v[156:157], v[10:11], s[0:1]
	;; [unrolled: 1-line block ×3, first 2 shown]
	v_fmac_f64_e32 v[142:143], s[8:9], v[140:141]
	v_mul_f64 v[140:141], v[36:37], s[20:21]
	v_fmac_f64_e32 v[22:23], s[16:17], v[10:11]
	v_fmac_f64_e32 v[30:31], s[10:11], v[26:27]
	v_fmac_f64_e32 v[154:155], s[20:21], v[18:19]
	v_fmac_f64_e32 v[156:157], s[16:17], v[28:29]
	v_fmac_f64_e32 v[158:159], s[8:9], v[26:27]
	v_fmac_f64_e32 v[140:141], s[0:1], v[18:19]
	v_add_f64 v[0:1], v[32:33], v[24:25]
	v_add_f64 v[4:5], v[38:39], v[22:23]
	;; [unrolled: 1-line block ×10, first 2 shown]
	v_add_f64 v[20:21], v[32:33], -v[24:25]
	v_add_f64 v[24:25], v[38:39], -v[22:23]
	v_add_f64 v[28:29], v[78:79], -v[30:31]
	v_add_f64 v[32:33], v[136:137], -v[152:153]
	v_add_f64 v[36:37], v[34:35], -v[154:155]
	v_add_f64 v[22:23], v[76:77], -v[150:151]
	v_add_f64 v[26:27], v[146:147], -v[156:157]
	v_add_f64 v[30:31], v[148:149], -v[158:159]
	v_add_f64 v[34:35], v[138:139], -v[142:143]
	v_add_f64 v[38:39], v[144:145], -v[140:141]
	s_barrier
	ds_write_b128 v210, v[0:3]
	ds_write_b128 v210, v[4:7] offset:16
	ds_write_b128 v210, v[8:11] offset:32
	ds_write_b128 v210, v[12:15] offset:48
	ds_write_b128 v210, v[16:19] offset:64
	ds_write_b128 v210, v[20:23] offset:80
	ds_write_b128 v210, v[24:27] offset:96
	ds_write_b128 v210, v[28:31] offset:112
	ds_write_b128 v210, v[32:35] offset:128
	ds_write_b128 v210, v[36:39] offset:144
	s_waitcnt lgkmcnt(0)
	s_barrier
	ds_read_b128 v[136:139], v176
	ds_read_b128 v[0:3], v176 offset:2080
	ds_read_b128 v[4:7], v176 offset:4160
	;; [unrolled: 1-line block ×9, first 2 shown]
	s_waitcnt lgkmcnt(8)
	v_mul_f64 v[36:37], v[54:55], v[2:3]
	v_fmac_f64_e32 v[36:37], v[52:53], v[0:1]
	v_mul_f64 v[0:1], v[54:55], v[0:1]
	v_fma_f64 v[0:1], v[52:53], v[2:3], -v[0:1]
	s_waitcnt lgkmcnt(7)
	v_mul_f64 v[2:3], v[50:51], v[6:7]
	v_fmac_f64_e32 v[2:3], v[48:49], v[4:5]
	v_mul_f64 v[4:5], v[50:51], v[4:5]
	v_fma_f64 v[4:5], v[48:49], v[6:7], -v[4:5]
	;; [unrolled: 5-line block ×8, first 2 shown]
	v_add_f64 v[38:39], v[10:11], v[18:19]
	v_fma_f64 v[38:39], -0.5, v[38:39], v[136:137]
	v_add_f64 v[40:41], v[4:5], -v[28:29]
	v_fma_f64 v[62:63], s[12:13], v[40:41], v[38:39]
	v_add_f64 v[42:43], v[12:13], -v[20:21]
	v_add_f64 v[44:45], v[2:3], -v[10:11]
	;; [unrolled: 1-line block ×3, first 2 shown]
	v_fmac_f64_e32 v[38:39], s[8:9], v[40:41]
	s_waitcnt lgkmcnt(0)
	v_mul_f64 v[30:31], v[74:75], v[34:35]
	v_fmac_f64_e32 v[62:63], s[14:15], v[42:43]
	v_add_f64 v[44:45], v[44:45], v[46:47]
	v_fmac_f64_e32 v[38:39], s[0:1], v[42:43]
	v_fmac_f64_e32 v[30:31], v[72:73], v[32:33]
	v_mul_f64 v[32:33], v[74:75], v[32:33]
	v_fmac_f64_e32 v[62:63], s[10:11], v[44:45]
	v_fmac_f64_e32 v[38:39], s[10:11], v[44:45]
	v_add_f64 v[44:45], v[2:3], v[26:27]
	v_fma_f64 v[32:33], v[72:73], v[34:35], -v[32:33]
	v_add_f64 v[34:35], v[136:137], v[2:3]
	v_fmac_f64_e32 v[136:137], -0.5, v[44:45]
	v_fma_f64 v[64:65], s[8:9], v[42:43], v[136:137]
	v_fmac_f64_e32 v[136:137], s[12:13], v[42:43]
	v_fmac_f64_e32 v[64:65], s[14:15], v[40:41]
	;; [unrolled: 1-line block ×3, first 2 shown]
	v_add_f64 v[40:41], v[138:139], v[4:5]
	v_add_f64 v[40:41], v[40:41], v[12:13]
	;; [unrolled: 1-line block ×7, first 2 shown]
	v_add_f64 v[44:45], v[10:11], -v[2:3]
	v_fma_f64 v[76:77], -0.5, v[40:41], v[138:139]
	v_add_f64 v[2:3], v[2:3], -v[26:27]
	v_add_f64 v[34:35], v[34:35], v[26:27]
	v_add_f64 v[46:47], v[18:19], -v[26:27]
	v_fma_f64 v[26:27], s[8:9], v[2:3], v[76:77]
	v_add_f64 v[10:11], v[10:11], -v[18:19]
	v_add_f64 v[18:19], v[4:5], -v[12:13]
	;; [unrolled: 1-line block ×3, first 2 shown]
	v_fmac_f64_e32 v[76:77], s[12:13], v[2:3]
	v_fmac_f64_e32 v[26:27], s[0:1], v[10:11]
	v_add_f64 v[18:19], v[18:19], v[40:41]
	v_fmac_f64_e32 v[76:77], s[14:15], v[10:11]
	v_fmac_f64_e32 v[26:27], s[10:11], v[18:19]
	;; [unrolled: 1-line block ×3, first 2 shown]
	v_add_f64 v[18:19], v[4:5], v[28:29]
	v_fmac_f64_e32 v[138:139], -0.5, v[18:19]
	v_fma_f64 v[18:19], s[12:13], v[10:11], v[138:139]
	v_add_f64 v[4:5], v[12:13], -v[4:5]
	v_add_f64 v[12:13], v[20:21], -v[28:29]
	v_fmac_f64_e32 v[138:139], s[8:9], v[10:11]
	v_fmac_f64_e32 v[18:19], s[0:1], v[2:3]
	v_add_f64 v[4:5], v[4:5], v[12:13]
	v_fmac_f64_e32 v[138:139], s[14:15], v[2:3]
	v_fmac_f64_e32 v[18:19], s[10:11], v[4:5]
	;; [unrolled: 1-line block ×3, first 2 shown]
	v_add_f64 v[4:5], v[14:15], v[22:23]
	v_fma_f64 v[4:5], -0.5, v[4:5], v[36:37]
	v_add_f64 v[10:11], v[8:9], -v[32:33]
	v_fma_f64 v[12:13], s[12:13], v[10:11], v[4:5]
	v_add_f64 v[20:21], v[16:17], -v[24:25]
	v_add_f64 v[28:29], v[6:7], -v[14:15]
	;; [unrolled: 1-line block ×3, first 2 shown]
	v_fmac_f64_e32 v[4:5], s[8:9], v[10:11]
	v_fmac_f64_e32 v[12:13], s[14:15], v[20:21]
	v_add_f64 v[28:29], v[28:29], v[40:41]
	v_fmac_f64_e32 v[4:5], s[0:1], v[20:21]
	v_fmac_f64_e32 v[12:13], s[10:11], v[28:29]
	;; [unrolled: 1-line block ×3, first 2 shown]
	v_add_f64 v[28:29], v[6:7], v[30:31]
	v_add_f64 v[2:3], v[36:37], v[6:7]
	v_fmac_f64_e32 v[36:37], -0.5, v[28:29]
	v_add_f64 v[2:3], v[2:3], v[14:15]
	v_fma_f64 v[28:29], s[8:9], v[20:21], v[36:37]
	v_add_f64 v[40:41], v[14:15], -v[6:7]
	v_add_f64 v[42:43], v[22:23], -v[30:31]
	v_fmac_f64_e32 v[36:37], s[12:13], v[20:21]
	v_add_f64 v[20:21], v[16:17], v[24:25]
	v_add_f64 v[2:3], v[2:3], v[22:23]
	v_fmac_f64_e32 v[28:29], s[14:15], v[10:11]
	v_add_f64 v[40:41], v[40:41], v[42:43]
	v_fmac_f64_e32 v[36:37], s[0:1], v[10:11]
	v_fma_f64 v[20:21], -0.5, v[20:21], v[0:1]
	v_add_f64 v[6:7], v[6:7], -v[30:31]
	v_add_f64 v[2:3], v[2:3], v[30:31]
	v_fmac_f64_e32 v[28:29], s[10:11], v[40:41]
	v_fmac_f64_e32 v[36:37], s[10:11], v[40:41]
	v_fma_f64 v[30:31], s[8:9], v[6:7], v[20:21]
	v_add_f64 v[14:15], v[14:15], -v[22:23]
	v_add_f64 v[22:23], v[8:9], -v[16:17]
	;; [unrolled: 1-line block ×3, first 2 shown]
	v_fmac_f64_e32 v[20:21], s[12:13], v[6:7]
	v_fmac_f64_e32 v[30:31], s[0:1], v[14:15]
	v_add_f64 v[22:23], v[22:23], v[40:41]
	v_fmac_f64_e32 v[20:21], s[14:15], v[14:15]
	v_fmac_f64_e32 v[30:31], s[10:11], v[22:23]
	;; [unrolled: 1-line block ×3, first 2 shown]
	v_add_f64 v[22:23], v[8:9], v[32:33]
	v_add_f64 v[10:11], v[0:1], v[8:9]
	v_fmac_f64_e32 v[0:1], -0.5, v[22:23]
	v_add_f64 v[10:11], v[10:11], v[16:17]
	v_fma_f64 v[22:23], s[12:13], v[14:15], v[0:1]
	v_add_f64 v[8:9], v[16:17], -v[8:9]
	v_add_f64 v[16:17], v[24:25], -v[32:33]
	v_fmac_f64_e32 v[0:1], s[8:9], v[14:15]
	v_fmac_f64_e32 v[22:23], s[0:1], v[6:7]
	v_add_f64 v[8:9], v[8:9], v[16:17]
	v_fmac_f64_e32 v[0:1], s[14:15], v[6:7]
	v_add_f64 v[10:11], v[10:11], v[24:25]
	v_fmac_f64_e32 v[22:23], s[10:11], v[8:9]
	v_fmac_f64_e32 v[0:1], s[10:11], v[8:9]
	v_mul_f64 v[6:7], v[30:31], s[14:15]
	v_mul_f64 v[24:25], v[30:31], s[16:17]
	v_add_f64 v[44:45], v[44:45], v[46:47]
	v_fmac_f64_e32 v[6:7], s[16:17], v[12:13]
	v_mul_f64 v[8:9], v[22:23], s[12:13]
	v_mul_f64 v[14:15], v[0:1], s[12:13]
	;; [unrolled: 1-line block ×3, first 2 shown]
	v_fmac_f64_e32 v[24:25], s[0:1], v[12:13]
	v_mul_f64 v[12:13], v[22:23], s[10:11]
	v_mul_f64 v[0:1], v[0:1], s[18:19]
	v_mul_f64 v[20:21], v[20:21], s[20:21]
	v_fmac_f64_e32 v[64:65], s[10:11], v[44:45]
	v_fmac_f64_e32 v[136:137], s[10:11], v[44:45]
	v_add_f64 v[10:11], v[10:11], v[32:33]
	v_fmac_f64_e32 v[8:9], s[10:11], v[28:29]
	v_fmac_f64_e32 v[14:15], s[18:19], v[36:37]
	;; [unrolled: 1-line block ×6, first 2 shown]
	v_add_f64 v[40:41], v[34:35], v[2:3]
	v_add_f64 v[44:45], v[62:63], v[6:7]
	;; [unrolled: 1-line block ×10, first 2 shown]
	v_add_f64 v[60:61], v[34:35], -v[2:3]
	v_add_f64 v[68:69], v[62:63], -v[6:7]
	;; [unrolled: 1-line block ×10, first 2 shown]
	s_barrier
	ds_write_b128 v211, v[40:43]
	ds_write_b128 v211, v[44:47] offset:160
	ds_write_b128 v211, v[48:51] offset:320
	;; [unrolled: 1-line block ×9, first 2 shown]
	s_waitcnt lgkmcnt(0)
	s_barrier
	s_and_saveexec_b64 s[0:1], vcc
	s_cbranch_execz .LBB0_7
; %bb.6:
	ds_read_b128 v[40:43], v176
	ds_read_b128 v[44:47], v176 offset:1600
	ds_read_b128 v[48:51], v176 offset:3200
	;; [unrolled: 1-line block ×12, first 2 shown]
.LBB0_7:
	s_or_b64 exec, exec, s[0:1]
	s_and_saveexec_b64 s[0:1], vcc
	s_cbranch_execz .LBB0_9
; %bb.8:
	s_waitcnt lgkmcnt(6)
	v_mul_f64 v[136:137], v[118:119], v[70:71]
	v_mul_f64 v[0:1], v[118:119], v[68:69]
	v_fmac_f64_e32 v[136:137], v[116:117], v[68:69]
	v_fma_f64 v[116:117], v[116:117], v[70:71], -v[0:1]
	s_waitcnt lgkmcnt(5)
	v_mul_f64 v[0:1], v[114:115], v[140:141]
	v_mul_f64 v[138:139], v[114:115], v[142:143]
	v_fma_f64 v[118:119], v[112:113], v[142:143], -v[0:1]
	v_mul_f64 v[0:1], v[102:103], v[60:61]
	v_fmac_f64_e32 v[138:139], v[112:113], v[140:141]
	v_mul_f64 v[112:113], v[102:103], v[62:63]
	v_fma_f64 v[102:103], v[100:101], v[62:63], -v[0:1]
	s_waitcnt lgkmcnt(4)
	v_mul_f64 v[0:1], v[106:107], v[72:73]
	v_fmac_f64_e32 v[112:113], v[100:101], v[60:61]
	v_fma_f64 v[100:101], v[104:105], v[74:75], -v[0:1]
	v_mul_f64 v[0:1], v[90:91], v[56:57]
	v_mul_f64 v[114:115], v[106:107], v[74:75]
	v_fma_f64 v[106:107], v[88:89], v[58:59], -v[0:1]
	s_waitcnt lgkmcnt(3)
	v_mul_f64 v[0:1], v[122:123], v[64:65]
	v_fmac_f64_e32 v[114:115], v[104:105], v[72:73]
	v_mul_f64 v[74:75], v[90:91], v[58:59]
	v_mul_f64 v[72:73], v[122:123], v[66:67]
	v_fma_f64 v[90:91], v[120:121], v[66:67], -v[0:1]
	v_mul_f64 v[0:1], v[86:87], v[52:53]
	v_fmac_f64_e32 v[72:73], v[120:121], v[64:65]
	v_fma_f64 v[120:121], v[84:85], v[54:55], -v[0:1]
	s_waitcnt lgkmcnt(2)
	v_mul_f64 v[0:1], v[110:111], v[132:133]
	v_fmac_f64_e32 v[74:75], v[88:89], v[56:57]
	v_mul_f64 v[104:105], v[86:87], v[54:55]
	v_mul_f64 v[88:89], v[110:111], v[134:135]
	v_fma_f64 v[86:87], v[108:109], v[134:135], -v[0:1]
	v_mul_f64 v[0:1], v[82:83], v[48:49]
	v_accvgpr_read_b32 v18, a42
	v_fmac_f64_e32 v[104:105], v[84:85], v[52:53]
	v_fmac_f64_e32 v[88:89], v[108:109], v[132:133]
	v_mul_f64 v[108:109], v[82:83], v[50:51]
	s_waitcnt lgkmcnt(1)
	v_mul_f64 v[84:85], v[98:99], v[130:131]
	v_fma_f64 v[110:111], v[80:81], v[50:51], -v[0:1]
	v_mul_f64 v[0:1], v[98:99], v[128:129]
	v_accvgpr_read_b32 v20, a44
	v_accvgpr_read_b32 v21, a45
	v_fmac_f64_e32 v[108:109], v[80:81], v[48:49]
	v_fmac_f64_e32 v[84:85], v[96:97], v[128:129]
	v_fma_f64 v[82:83], v[96:97], v[130:131], -v[0:1]
	v_accvgpr_read_b32 v19, a43
	v_mul_f64 v[96:97], v[20:21], v[46:47]
	s_waitcnt lgkmcnt(0)
	v_mul_f64 v[80:81], v[94:95], v[126:127]
	v_mul_f64 v[0:1], v[20:21], v[44:45]
	v_fmac_f64_e32 v[96:97], v[18:19], v[44:45]
	v_fmac_f64_e32 v[80:81], v[92:93], v[124:125]
	s_mov_b32 s28, 0x4bc48dbf
	v_fma_f64 v[78:79], v[18:19], v[46:47], -v[0:1]
	v_mul_f64 v[0:1], v[94:95], v[124:125]
	v_add_f64 v[16:17], v[96:97], -v[80:81]
	s_mov_b32 s29, 0xbfcea1e5
	v_fma_f64 v[76:77], v[92:93], v[126:127], -v[0:1]
	s_mov_b32 s26, 0x93053d00
	s_mov_b32 s20, 0x24c2f84
	v_add_f64 v[4:5], v[108:109], -v[84:85]
	s_mov_b32 s25, 0x3fddbe06
	s_mov_b32 s24, 0x4267c47c
	;; [unrolled: 1-line block ×3, first 2 shown]
	v_mul_f64 v[48:49], v[16:17], s[28:29]
	v_add_f64 v[0:1], v[78:79], v[76:77]
	s_mov_b32 s27, 0xbfef11f4
	s_mov_b32 s34, 0x42a4c3d2
	v_add_f64 v[150:151], v[104:105], -v[88:89]
	s_mov_b32 s21, 0xbfe5384d
	s_mov_b32 s16, 0xd0032e0c
	v_mul_f64 v[38:39], v[4:5], s[24:25]
	v_add_f64 v[98:99], v[110:111], v[82:83]
	s_mov_b32 s19, 0x3fec55a7
	v_fma_f64 v[14:15], s[26:27], v[0:1], v[48:49]
	s_mov_b32 s14, 0x2ef20147
	v_add_f64 v[148:149], v[74:75], -v[72:73]
	s_mov_b32 s35, 0x3fea55e2
	s_mov_b32 s12, 0x1ea71119
	v_mul_f64 v[36:37], v[150:151], s[20:21]
	v_add_f64 v[132:133], v[120:121], v[86:87]
	s_mov_b32 s17, 0xbfe7f3cc
	v_fma_f64 v[12:13], s[18:19], v[98:99], v[38:39]
	v_add_f64 v[14:15], v[42:43], v[14:15]
	v_add_f64 v[28:29], v[78:79], -v[76:77]
	s_mov_b32 s22, 0x66966769
	v_add_f64 v[146:147], v[112:113], -v[114:115]
	s_mov_b32 s15, 0xbfedeba7
	s_mov_b32 s10, 0xb2365da1
	v_mul_f64 v[34:35], v[148:149], s[34:35]
	v_add_f64 v[122:123], v[106:107], v[90:91]
	s_mov_b32 s13, 0x3fe22d96
	v_fma_f64 v[10:11], s[16:17], v[132:133], v[36:37]
	v_add_f64 v[12:13], v[12:13], v[14:15]
	v_add_f64 v[26:27], v[110:111], -v[82:83]
	v_add_f64 v[14:15], v[96:97], v[80:81]
	v_mul_f64 v[68:69], v[28:29], s[28:29]
	v_add_f64 v[144:145], v[136:137], -v[138:139]
	s_mov_b32 s23, 0x3fefc445
	s_mov_b32 s8, 0xebaa3ed8
	v_mul_f64 v[32:33], v[146:147], s[14:15]
	v_add_f64 v[142:143], v[102:103], v[100:101]
	s_mov_b32 s11, 0xbfd6b1d8
	v_fma_f64 v[8:9], s[12:13], v[122:123], v[34:35]
	v_add_f64 v[10:11], v[10:11], v[12:13]
	v_add_f64 v[24:25], v[120:121], -v[86:87]
	v_add_f64 v[12:13], v[108:109], v[84:85]
	v_mul_f64 v[64:65], v[26:27], s[24:25]
	v_fma_f64 v[70:71], v[14:15], s[26:27], -v[68:69]
	v_fma_f64 v[48:49], v[0:1], s[26:27], -v[48:49]
	v_mul_f64 v[30:31], v[144:145], s[22:23]
	v_add_f64 v[140:141], v[116:117], v[118:119]
	s_mov_b32 s9, 0x3fbedb7d
	v_fma_f64 v[6:7], s[10:11], v[142:143], v[32:33]
	v_add_f64 v[8:9], v[8:9], v[10:11]
	v_add_f64 v[22:23], v[106:107], -v[90:91]
	v_add_f64 v[10:11], v[104:105], v[88:89]
	v_mul_f64 v[60:61], v[24:25], s[20:21]
	v_fma_f64 v[66:67], v[12:13], s[18:19], -v[64:65]
	v_add_f64 v[70:71], v[40:41], v[70:71]
	v_fma_f64 v[38:39], v[98:99], s[18:19], -v[38:39]
	v_add_f64 v[48:49], v[42:43], v[48:49]
	v_fma_f64 v[2:3], s[8:9], v[140:141], v[30:31]
	v_add_f64 v[6:7], v[6:7], v[8:9]
	v_add_f64 v[20:21], v[102:103], -v[100:101]
	v_add_f64 v[8:9], v[74:75], v[72:73]
	v_mul_f64 v[56:57], v[22:23], s[34:35]
	v_fma_f64 v[62:63], v[10:11], s[16:17], -v[60:61]
	v_add_f64 v[66:67], v[66:67], v[70:71]
	v_fma_f64 v[36:37], v[132:133], s[16:17], -v[36:37]
	v_add_f64 v[38:39], v[38:39], v[48:49]
	v_add_f64 v[46:47], v[2:3], v[6:7]
	v_add_f64 v[18:19], v[116:117], -v[118:119]
	v_add_f64 v[6:7], v[112:113], v[114:115]
	v_mul_f64 v[54:55], v[20:21], s[14:15]
	v_fma_f64 v[58:59], v[8:9], s[12:13], -v[56:57]
	v_add_f64 v[62:63], v[62:63], v[66:67]
	v_fma_f64 v[34:35], v[122:123], s[12:13], -v[34:35]
	v_add_f64 v[36:37], v[36:37], v[38:39]
	v_add_f64 v[2:3], v[136:137], v[138:139]
	v_mul_f64 v[52:53], v[18:19], s[22:23]
	v_fma_f64 v[50:51], v[6:7], s[10:11], -v[54:55]
	v_add_f64 v[58:59], v[58:59], v[62:63]
	v_fma_f64 v[32:33], v[142:143], s[10:11], -v[32:33]
	v_add_f64 v[34:35], v[34:35], v[36:37]
	;; [unrolled: 2-line block ×4, first 2 shown]
	v_fmac_f64_e32 v[68:69], s[26:27], v[14:15]
	v_add_f64 v[44:45], v[44:45], v[50:51]
	v_add_f64 v[50:51], v[30:31], v[32:33]
	v_fmac_f64_e32 v[64:65], s[18:19], v[12:13]
	v_add_f64 v[30:31], v[40:41], v[68:69]
	v_fmac_f64_e32 v[60:61], s[16:17], v[10:11]
	v_add_f64 v[30:31], v[64:65], v[30:31]
	v_mul_f64 v[62:63], v[16:17], s[20:21]
	v_fmac_f64_e32 v[56:57], s[12:13], v[8:9]
	v_add_f64 v[30:31], v[60:61], v[30:31]
	s_mov_b32 s31, 0xbfea55e2
	s_mov_b32 s30, s34
	v_mul_f64 v[58:59], v[4:5], s[22:23]
	v_fma_f64 v[64:65], s[16:17], v[0:1], v[62:63]
	v_fmac_f64_e32 v[54:55], s[10:11], v[6:7]
	v_add_f64 v[30:31], v[56:57], v[30:31]
	s_mov_b32 s41, 0x3fcea1e5
	s_mov_b32 s40, s28
	v_mul_f64 v[56:57], v[150:151], s[30:31]
	v_fma_f64 v[60:61], s[8:9], v[98:99], v[58:59]
	v_add_f64 v[64:65], v[42:43], v[64:65]
	v_mul_f64 v[124:125], v[28:29], s[20:21]
	v_fmac_f64_e32 v[52:53], s[8:9], v[2:3]
	v_add_f64 v[30:31], v[54:55], v[30:31]
	v_mul_f64 v[38:39], v[148:149], s[40:41]
	v_fma_f64 v[54:55], s[12:13], v[132:133], v[56:57]
	v_add_f64 v[60:61], v[60:61], v[64:65]
	v_mul_f64 v[92:93], v[26:27], s[22:23]
	v_fma_f64 v[126:127], v[14:15], s[16:17], -v[124:125]
	v_add_f64 v[48:49], v[52:53], v[30:31]
	v_mul_f64 v[34:35], v[146:147], s[24:25]
	v_fma_f64 v[52:53], s[26:27], v[122:123], v[38:39]
	v_add_f64 v[54:55], v[54:55], v[60:61]
	v_mul_f64 v[68:69], v[24:25], s[30:31]
	v_fma_f64 v[94:95], v[12:13], s[8:9], -v[92:93]
	v_add_f64 v[126:127], v[40:41], v[126:127]
	v_mul_f64 v[30:31], v[144:145], s[14:15]
	v_fma_f64 v[36:37], s[18:19], v[142:143], v[34:35]
	v_add_f64 v[52:53], v[52:53], v[54:55]
	v_mul_f64 v[64:65], v[22:23], s[40:41]
	v_fma_f64 v[70:71], v[10:11], s[12:13], -v[68:69]
	v_add_f64 v[94:95], v[94:95], v[126:127]
	v_fma_f64 v[32:33], s[10:11], v[140:141], v[30:31]
	v_add_f64 v[36:37], v[36:37], v[52:53]
	v_mul_f64 v[60:61], v[20:21], s[24:25]
	v_fma_f64 v[66:67], v[8:9], s[26:27], -v[64:65]
	v_add_f64 v[70:71], v[70:71], v[94:95]
	v_add_f64 v[54:55], v[32:33], v[36:37]
	v_mul_f64 v[32:33], v[18:19], s[14:15]
	v_fma_f64 v[52:53], v[6:7], s[18:19], -v[60:61]
	v_add_f64 v[66:67], v[66:67], v[70:71]
	v_fma_f64 v[36:37], v[2:3], s[10:11], -v[32:33]
	v_add_f64 v[52:53], v[52:53], v[66:67]
	v_add_f64 v[52:53], v[36:37], v[52:53]
	v_fma_f64 v[36:37], v[122:123], s[26:27], -v[38:39]
	v_fma_f64 v[38:39], v[132:133], s[12:13], -v[56:57]
	;; [unrolled: 1-line block ×4, first 2 shown]
	v_add_f64 v[58:59], v[42:43], v[58:59]
	v_add_f64 v[56:57], v[56:57], v[58:59]
	;; [unrolled: 1-line block ×3, first 2 shown]
	v_fma_f64 v[34:35], v[142:143], s[18:19], -v[34:35]
	v_add_f64 v[36:37], v[36:37], v[38:39]
	v_fma_f64 v[30:31], v[140:141], s[10:11], -v[30:31]
	v_add_f64 v[34:35], v[34:35], v[36:37]
	v_fmac_f64_e32 v[124:125], s[16:17], v[14:15]
	v_add_f64 v[58:59], v[30:31], v[34:35]
	v_fmac_f64_e32 v[92:93], s[8:9], v[12:13]
	;; [unrolled: 2-line block ×3, first 2 shown]
	v_add_f64 v[30:31], v[92:93], v[30:31]
	s_mov_b32 s39, 0x3fe5384d
	s_mov_b32 s38, s20
	v_mul_f64 v[70:71], v[16:17], s[14:15]
	v_fmac_f64_e32 v[64:65], s[26:27], v[8:9]
	v_add_f64 v[30:31], v[68:69], v[30:31]
	v_mul_f64 v[66:67], v[4:5], s[38:39]
	v_fma_f64 v[92:93], s[10:11], v[0:1], v[70:71]
	v_add_f64 v[30:31], v[64:65], v[30:31]
	s_mov_b32 s37, 0xbfefc445
	s_mov_b32 s36, s22
	v_mul_f64 v[64:65], v[150:151], s[24:25]
	v_fma_f64 v[68:69], s[16:17], v[98:99], v[66:67]
	v_add_f64 v[92:93], v[42:43], v[92:93]
	v_mul_f64 v[134:135], v[28:29], s[14:15]
	v_fmac_f64_e32 v[60:61], s[18:19], v[6:7]
	v_mul_f64 v[38:39], v[148:149], s[36:37]
	v_fma_f64 v[62:63], s[18:19], v[132:133], v[64:65]
	v_add_f64 v[68:69], v[68:69], v[92:93]
	v_mul_f64 v[128:129], v[26:27], s[38:39]
	v_fma_f64 v[152:153], v[14:15], s[10:11], -v[134:135]
	v_fmac_f64_e32 v[32:33], s[10:11], v[2:3]
	v_add_f64 v[30:31], v[60:61], v[30:31]
	v_mul_f64 v[34:35], v[146:147], s[40:41]
	v_fma_f64 v[60:61], s[8:9], v[122:123], v[38:39]
	v_add_f64 v[62:63], v[62:63], v[68:69]
	v_mul_f64 v[124:125], v[24:25], s[24:25]
	v_fma_f64 v[130:131], v[12:13], s[16:17], -v[128:129]
	v_add_f64 v[152:153], v[40:41], v[152:153]
	v_add_f64 v[56:57], v[32:33], v[30:31]
	v_mul_f64 v[30:31], v[144:145], s[34:35]
	v_fma_f64 v[36:37], s[26:27], v[142:143], v[34:35]
	v_add_f64 v[60:61], v[60:61], v[62:63]
	v_mul_f64 v[92:93], v[22:23], s[36:37]
	v_fma_f64 v[126:127], v[10:11], s[18:19], -v[124:125]
	v_add_f64 v[130:131], v[130:131], v[152:153]
	v_fma_f64 v[32:33], s[12:13], v[140:141], v[30:31]
	v_add_f64 v[36:37], v[36:37], v[60:61]
	v_mul_f64 v[68:69], v[20:21], s[40:41]
	v_fma_f64 v[94:95], v[8:9], s[8:9], -v[92:93]
	v_add_f64 v[126:127], v[126:127], v[130:131]
	v_add_f64 v[62:63], v[32:33], v[36:37]
	v_mul_f64 v[32:33], v[18:19], s[34:35]
	v_fma_f64 v[60:61], v[6:7], s[26:27], -v[68:69]
	v_add_f64 v[94:95], v[94:95], v[126:127]
	v_fma_f64 v[36:37], v[2:3], s[12:13], -v[32:33]
	v_add_f64 v[60:61], v[60:61], v[94:95]
	v_add_f64 v[60:61], v[36:37], v[60:61]
	v_fma_f64 v[36:37], v[122:123], s[8:9], -v[38:39]
	v_fma_f64 v[38:39], v[132:133], s[18:19], -v[64:65]
	;; [unrolled: 1-line block ×4, first 2 shown]
	v_add_f64 v[66:67], v[42:43], v[66:67]
	v_add_f64 v[64:65], v[64:65], v[66:67]
	;; [unrolled: 1-line block ×3, first 2 shown]
	v_fma_f64 v[34:35], v[142:143], s[26:27], -v[34:35]
	v_add_f64 v[36:37], v[36:37], v[38:39]
	v_fma_f64 v[30:31], v[140:141], s[12:13], -v[30:31]
	v_add_f64 v[34:35], v[34:35], v[36:37]
	v_fmac_f64_e32 v[134:135], s[10:11], v[14:15]
	v_add_f64 v[66:67], v[30:31], v[34:35]
	v_fmac_f64_e32 v[128:129], s[16:17], v[12:13]
	;; [unrolled: 2-line block ×3, first 2 shown]
	v_add_f64 v[30:31], v[128:129], v[30:31]
	v_mul_f64 v[126:127], v[16:17], s[36:37]
	v_fmac_f64_e32 v[92:93], s[8:9], v[8:9]
	v_add_f64 v[30:31], v[124:125], v[30:31]
	s_mov_b32 s35, 0x3fedeba7
	s_mov_b32 s34, s14
	v_mul_f64 v[94:95], v[4:5], s[28:29]
	v_fma_f64 v[128:129], s[8:9], v[0:1], v[126:127]
	v_add_f64 v[30:31], v[92:93], v[30:31]
	v_mul_f64 v[92:93], v[150:151], s[34:35]
	v_fma_f64 v[124:125], s[26:27], v[98:99], v[94:95]
	v_add_f64 v[128:129], v[42:43], v[128:129]
	v_mul_f64 v[158:159], v[28:29], s[36:37]
	v_fmac_f64_e32 v[68:69], s[26:27], v[6:7]
	v_mul_f64 v[38:39], v[148:149], s[24:25]
	v_fma_f64 v[70:71], s[10:11], v[132:133], v[92:93]
	v_add_f64 v[124:125], v[124:125], v[128:129]
	v_mul_f64 v[154:155], v[26:27], s[28:29]
	v_fma_f64 v[160:161], v[14:15], s[8:9], -v[158:159]
	v_fmac_f64_e32 v[32:33], s[12:13], v[2:3]
	v_add_f64 v[30:31], v[68:69], v[30:31]
	v_mul_f64 v[34:35], v[146:147], s[30:31]
	v_fma_f64 v[68:69], s[18:19], v[122:123], v[38:39]
	v_add_f64 v[70:71], v[70:71], v[124:125]
	v_mul_f64 v[134:135], v[24:25], s[34:35]
	v_fma_f64 v[156:157], v[12:13], s[26:27], -v[154:155]
	v_add_f64 v[160:161], v[40:41], v[160:161]
	v_add_f64 v[64:65], v[32:33], v[30:31]
	v_mul_f64 v[30:31], v[144:145], s[20:21]
	v_fma_f64 v[36:37], s[12:13], v[142:143], v[34:35]
	v_add_f64 v[68:69], v[68:69], v[70:71]
	v_mul_f64 v[128:129], v[22:23], s[24:25]
	v_fma_f64 v[152:153], v[10:11], s[10:11], -v[134:135]
	v_add_f64 v[156:157], v[156:157], v[160:161]
	v_fma_f64 v[32:33], s[16:17], v[140:141], v[30:31]
	v_add_f64 v[36:37], v[36:37], v[68:69]
	v_mul_f64 v[124:125], v[20:21], s[30:31]
	v_fma_f64 v[130:131], v[8:9], s[18:19], -v[128:129]
	v_add_f64 v[152:153], v[152:153], v[156:157]
	v_add_f64 v[70:71], v[32:33], v[36:37]
	v_mul_f64 v[36:37], v[18:19], s[20:21]
	v_fma_f64 v[68:69], v[6:7], s[12:13], -v[124:125]
	v_add_f64 v[130:131], v[130:131], v[152:153]
	v_fma_f64 v[32:33], v[2:3], s[16:17], -v[36:37]
	v_add_f64 v[68:69], v[68:69], v[130:131]
	v_add_f64 v[68:69], v[32:33], v[68:69]
	v_fma_f64 v[32:33], v[142:143], s[12:13], -v[34:35]
	v_fma_f64 v[34:35], v[122:123], s[18:19], -v[38:39]
	;; [unrolled: 1-line block ×5, first 2 shown]
	v_add_f64 v[94:95], v[42:43], v[94:95]
	v_add_f64 v[92:93], v[92:93], v[94:95]
	v_add_f64 v[38:39], v[38:39], v[92:93]
	v_add_f64 v[34:35], v[34:35], v[38:39]
	v_fma_f64 v[30:31], v[140:141], s[16:17], -v[30:31]
	v_add_f64 v[32:33], v[32:33], v[34:35]
	v_fmac_f64_e32 v[158:159], s[8:9], v[14:15]
	v_add_f64 v[32:33], v[30:31], v[32:33]
	v_fmac_f64_e32 v[154:155], s[26:27], v[12:13]
	v_add_f64 v[30:31], v[40:41], v[158:159]
	v_mul_f64 v[152:153], v[16:17], s[30:31]
	v_fmac_f64_e32 v[134:135], s[10:11], v[10:11]
	v_add_f64 v[30:31], v[154:155], v[30:31]
	v_mul_f64 v[130:131], v[4:5], s[14:15]
	v_fma_f64 v[154:155], s[12:13], v[0:1], v[152:153]
	v_mul_f64 v[166:167], v[28:29], s[30:31]
	v_fmac_f64_e32 v[128:129], s[18:19], v[8:9]
	v_add_f64 v[30:31], v[134:135], v[30:31]
	v_mul_f64 v[126:127], v[150:151], s[28:29]
	v_fma_f64 v[134:135], s[10:11], v[98:99], v[130:131]
	v_add_f64 v[154:155], v[42:43], v[154:155]
	v_mul_f64 v[162:163], v[26:27], s[14:15]
	v_fma_f64 v[168:169], v[14:15], s[12:13], -v[166:167]
	v_fmac_f64_e32 v[124:125], s[12:13], v[6:7]
	v_add_f64 v[30:31], v[128:129], v[30:31]
	v_mul_f64 v[94:95], v[148:149], s[38:39]
	v_fma_f64 v[128:129], s[26:27], v[132:133], v[126:127]
	v_add_f64 v[134:135], v[134:135], v[154:155]
	v_mul_f64 v[158:159], v[24:25], s[28:29]
	v_fma_f64 v[164:165], v[12:13], s[10:11], -v[162:163]
	v_add_f64 v[168:169], v[40:41], v[168:169]
	v_fmac_f64_e32 v[36:37], s[16:17], v[2:3]
	v_add_f64 v[30:31], v[124:125], v[30:31]
	v_mul_f64 v[92:93], v[146:147], s[22:23]
	v_fma_f64 v[124:125], s[16:17], v[122:123], v[94:95]
	v_add_f64 v[128:129], v[128:129], v[134:135]
	v_mul_f64 v[154:155], v[22:23], s[38:39]
	v_fma_f64 v[160:161], v[10:11], s[26:27], -v[158:159]
	v_add_f64 v[164:165], v[164:165], v[168:169]
	v_add_f64 v[30:31], v[36:37], v[30:31]
	v_mul_f64 v[38:39], v[144:145], s[24:25]
	v_fma_f64 v[36:37], s[8:9], v[142:143], v[92:93]
	v_add_f64 v[124:125], v[124:125], v[128:129]
	v_mul_f64 v[128:129], v[20:21], s[22:23]
	v_fma_f64 v[156:157], v[8:9], s[16:17], -v[154:155]
	v_add_f64 v[160:161], v[160:161], v[164:165]
	v_fma_f64 v[34:35], s[18:19], v[140:141], v[38:39]
	v_add_f64 v[36:37], v[36:37], v[124:125]
	v_mul_f64 v[124:125], v[18:19], s[24:25]
	v_fma_f64 v[134:135], v[6:7], s[8:9], -v[128:129]
	v_add_f64 v[156:157], v[156:157], v[160:161]
	v_add_f64 v[36:37], v[34:35], v[36:37]
	v_fma_f64 v[34:35], v[2:3], s[18:19], -v[124:125]
	v_add_f64 v[134:135], v[134:135], v[156:157]
	v_add_f64 v[34:35], v[34:35], v[134:135]
	v_fma_f64 v[134:135], v[0:1], s[12:13], -v[152:153]
	v_fma_f64 v[130:131], v[98:99], s[10:11], -v[130:131]
	v_add_f64 v[134:135], v[42:43], v[134:135]
	v_fma_f64 v[126:127], v[132:133], s[26:27], -v[126:127]
	v_add_f64 v[130:131], v[130:131], v[134:135]
	;; [unrolled: 2-line block ×5, first 2 shown]
	v_fmac_f64_e32 v[166:167], s[12:13], v[14:15]
	v_add_f64 v[94:95], v[38:39], v[92:93]
	v_fmac_f64_e32 v[162:163], s[10:11], v[12:13]
	v_add_f64 v[38:39], v[40:41], v[166:167]
	;; [unrolled: 2-line block ×5, first 2 shown]
	s_mov_b32 s25, 0xbfddbe06
	v_fmac_f64_e32 v[124:125], s[18:19], v[2:3]
	v_add_f64 v[38:39], v[128:129], v[38:39]
	v_mul_f64 v[16:17], v[16:17], s[24:25]
	v_add_f64 v[92:93], v[124:125], v[38:39]
	v_mul_f64 v[38:39], v[144:145], s[28:29]
	v_mul_f64 v[144:145], v[150:151], s[36:37]
	;; [unrolled: 1-line block ×3, first 2 shown]
	v_fma_f64 v[150:151], s[18:19], v[0:1], v[16:17]
	v_fma_f64 v[0:1], v[0:1], s[18:19], -v[16:17]
	v_mul_f64 v[130:131], v[148:149], s[14:15]
	v_fma_f64 v[148:149], s[12:13], v[98:99], v[4:5]
	v_fma_f64 v[4:5], v[98:99], s[12:13], -v[4:5]
	v_add_f64 v[0:1], v[42:43], v[0:1]
	v_fma_f64 v[134:135], s[10:11], v[122:123], v[130:131]
	v_fma_f64 v[122:123], v[122:123], s[10:11], -v[130:131]
	v_fma_f64 v[130:131], v[132:133], s[8:9], -v[144:145]
	v_add_f64 v[0:1], v[4:5], v[0:1]
	v_mul_f64 v[128:129], v[146:147], s[20:21]
	v_add_f64 v[0:1], v[130:131], v[0:1]
	v_fma_f64 v[126:127], s[16:17], v[142:143], v[128:129]
	v_mul_f64 v[28:29], v[28:29], s[24:25]
	v_fma_f64 v[128:129], v[142:143], s[16:17], -v[128:129]
	v_add_f64 v[0:1], v[122:123], v[0:1]
	v_fma_f64 v[124:125], s[26:27], v[140:141], v[38:39]
	v_add_f64 v[150:151], v[42:43], v[150:151]
	v_mul_f64 v[26:27], v[26:27], s[30:31]
	v_fma_f64 v[152:153], v[14:15], s[18:19], -v[28:29]
	v_fma_f64 v[38:39], v[140:141], s[26:27], -v[38:39]
	v_add_f64 v[0:1], v[128:129], v[0:1]
	v_fmac_f64_e32 v[28:29], s[18:19], v[14:15]
	v_fma_f64 v[146:147], s[8:9], v[132:133], v[144:145]
	v_add_f64 v[148:149], v[148:149], v[150:151]
	v_mul_f64 v[24:25], v[24:25], s[36:37]
	v_fma_f64 v[150:151], v[12:13], s[12:13], -v[26:27]
	v_add_f64 v[4:5], v[38:39], v[0:1]
	v_fmac_f64_e32 v[26:27], s[12:13], v[12:13]
	v_add_f64 v[0:1], v[40:41], v[28:29]
	v_add_f64 v[146:147], v[146:147], v[148:149]
	v_mul_f64 v[22:23], v[22:23], s[14:15]
	v_fma_f64 v[148:149], v[10:11], s[8:9], -v[24:25]
	v_fmac_f64_e32 v[24:25], s[8:9], v[10:11]
	v_add_f64 v[0:1], v[26:27], v[0:1]
	v_add_f64 v[134:135], v[134:135], v[146:147]
	v_mul_f64 v[20:21], v[20:21], s[20:21]
	v_fma_f64 v[146:147], v[8:9], s[10:11], -v[22:23]
	;; [unrolled: 5-line block ×3, first 2 shown]
	v_fmac_f64_e32 v[20:21], s[16:17], v[6:7]
	v_add_f64 v[0:1], v[22:23], v[0:1]
	v_add_f64 v[126:127], v[124:125], v[126:127]
	v_fma_f64 v[124:125], v[2:3], s[26:27], -v[18:19]
	v_fmac_f64_e32 v[18:19], s[26:27], v[2:3]
	v_add_f64 v[0:1], v[20:21], v[0:1]
	v_add_f64 v[2:3], v[18:19], v[0:1]
	;; [unrolled: 1-line block ×32, first 2 shown]
	ds_write_b128 v176, v[6:9]
	ds_write_b128 v176, v[2:5] offset:1600
	ds_write_b128 v176, v[92:95] offset:3200
	;; [unrolled: 1-line block ×12, first 2 shown]
.LBB0_9:
	s_or_b64 exec, exec, s[0:1]
	s_waitcnt lgkmcnt(0)
	s_barrier
	ds_read_b128 v[0:3], v176
	v_mad_u64_u32 v[14:15], s[0:1], s6, v214, 0
	v_mov_b32_e32 v4, v15
	v_mad_u64_u32 v[4:5], s[0:1], s7, v214, v[4:5]
	v_mov_b32_e32 v15, v4
	ds_read_b128 v[4:7], v176 offset:2080
	s_waitcnt lgkmcnt(1)
	v_mul_f64 v[8:9], v[244:245], v[2:3]
	v_fmac_f64_e32 v[8:9], v[242:243], v[0:1]
	s_mov_b32 s0, 0x7f9b2ce6
	v_mul_f64 v[0:1], v[244:245], v[0:1]
	s_mov_b32 s1, 0x3f4934c6
	v_fma_f64 v[0:1], v[242:243], v[2:3], -v[0:1]
	v_mov_b32_e32 v12, s2
	v_mov_b32_e32 v13, s3
	v_mul_f64 v[10:11], v[0:1], s[0:1]
	v_mad_u64_u32 v[0:1], s[2:3], s4, v212, 0
	v_mov_b32_e32 v2, v1
	v_mad_u64_u32 v[2:3], s[2:3], s5, v212, v[2:3]
	v_mov_b32_e32 v1, v2
	v_lshl_add_u64 v[2:3], v[14:15], 4, v[12:13]
	v_lshl_add_u64 v[12:13], v[0:1], 4, v[2:3]
	s_waitcnt lgkmcnt(0)
	v_mul_f64 v[0:1], v[218:219], v[6:7]
	v_mul_f64 v[2:3], v[218:219], v[4:5]
	v_fmac_f64_e32 v[0:1], v[216:217], v[4:5]
	v_fma_f64 v[2:3], v[216:217], v[6:7], -v[2:3]
	ds_read_b128 v[4:7], v176 offset:4160
	v_mul_f64 v[8:9], v[8:9], s[0:1]
	v_mov_b32_e32 v14, 0x820
	global_store_dwordx4 v[12:13], v[8:11], off
	v_mad_u64_u32 v[12:13], s[2:3], s4, v14, v[12:13]
	s_mul_i32 s2, s5, 0x820
	v_accvgpr_read_b32 v16, a18
	v_mul_f64 v[0:1], v[0:1], s[0:1]
	v_mul_f64 v[2:3], v[2:3], s[0:1]
	v_add_u32_e32 v13, s2, v13
	v_accvgpr_read_b32 v18, a20
	v_accvgpr_read_b32 v19, a21
	global_store_dwordx4 v[12:13], v[0:3], off
	ds_read_b128 v[0:3], v176 offset:6240
	v_accvgpr_read_b32 v17, a19
	s_waitcnt lgkmcnt(1)
	v_mul_f64 v[8:9], v[18:19], v[6:7]
	v_fmac_f64_e32 v[8:9], v[16:17], v[4:5]
	v_mul_f64 v[4:5], v[18:19], v[4:5]
	v_fma_f64 v[4:5], v[16:17], v[6:7], -v[4:5]
	v_mad_u64_u32 v[12:13], s[6:7], s4, v14, v[12:13]
	v_mul_f64 v[8:9], v[8:9], s[0:1]
	v_mul_f64 v[10:11], v[4:5], s[0:1]
	v_add_u32_e32 v13, s2, v13
	global_store_dwordx4 v[12:13], v[8:11], off
	v_accvgpr_read_b32 v6, a14
	v_accvgpr_read_b32 v7, a15
	;; [unrolled: 1-line block ×4, first 2 shown]
	s_waitcnt lgkmcnt(0)
	v_mul_f64 v[4:5], v[8:9], v[2:3]
	v_fmac_f64_e32 v[4:5], v[6:7], v[0:1]
	v_mul_f64 v[0:1], v[8:9], v[0:1]
	v_fma_f64 v[0:1], v[6:7], v[2:3], -v[0:1]
	v_mul_f64 v[6:7], v[0:1], s[0:1]
	ds_read_b128 v[0:3], v176 offset:8320
	v_mad_u64_u32 v[12:13], s[6:7], s4, v14, v[12:13]
	v_mul_f64 v[4:5], v[4:5], s[0:1]
	v_add_u32_e32 v13, s2, v13
	global_store_dwordx4 v[12:13], v[4:7], off
	ds_read_b128 v[4:7], v176 offset:10400
	v_accvgpr_read_b32 v16, a22
	v_accvgpr_read_b32 v18, a24
	;; [unrolled: 1-line block ×4, first 2 shown]
	s_waitcnt lgkmcnt(1)
	v_mul_f64 v[8:9], v[18:19], v[2:3]
	v_fmac_f64_e32 v[8:9], v[16:17], v[0:1]
	v_mul_f64 v[0:1], v[18:19], v[0:1]
	v_fma_f64 v[0:1], v[16:17], v[2:3], -v[0:1]
	v_mul_f64 v[10:11], v[0:1], s[0:1]
	s_waitcnt lgkmcnt(0)
	v_mul_f64 v[0:1], v[252:253], v[6:7]
	v_mul_f64 v[2:3], v[252:253], v[4:5]
	v_fmac_f64_e32 v[0:1], v[250:251], v[4:5]
	v_fma_f64 v[2:3], v[250:251], v[6:7], -v[2:3]
	ds_read_b128 v[4:7], v176 offset:12480
	v_mad_u64_u32 v[12:13], s[6:7], s4, v14, v[12:13]
	v_mul_f64 v[8:9], v[8:9], s[0:1]
	v_add_u32_e32 v13, s2, v13
	global_store_dwordx4 v[12:13], v[8:11], off
	v_mad_u64_u32 v[12:13], s[6:7], s4, v14, v[12:13]
	v_accvgpr_read_b32 v16, a30
	v_mul_f64 v[0:1], v[0:1], s[0:1]
	v_mul_f64 v[2:3], v[2:3], s[0:1]
	v_add_u32_e32 v13, s2, v13
	v_accvgpr_read_b32 v18, a32
	v_accvgpr_read_b32 v19, a33
	global_store_dwordx4 v[12:13], v[0:3], off
	ds_read_b128 v[0:3], v176 offset:14560
	v_accvgpr_read_b32 v17, a31
	s_waitcnt lgkmcnt(1)
	v_mul_f64 v[8:9], v[18:19], v[6:7]
	v_fmac_f64_e32 v[8:9], v[16:17], v[4:5]
	v_mul_f64 v[4:5], v[18:19], v[4:5]
	v_fma_f64 v[4:5], v[16:17], v[6:7], -v[4:5]
	v_mad_u64_u32 v[12:13], s[6:7], s4, v14, v[12:13]
	v_mul_f64 v[8:9], v[8:9], s[0:1]
	v_mul_f64 v[10:11], v[4:5], s[0:1]
	v_add_u32_e32 v13, s2, v13
	global_store_dwordx4 v[12:13], v[8:11], off
	v_accvgpr_read_b32 v6, a26
	v_accvgpr_read_b32 v7, a27
	;; [unrolled: 1-line block ×4, first 2 shown]
	s_waitcnt lgkmcnt(0)
	v_mul_f64 v[4:5], v[8:9], v[2:3]
	v_fmac_f64_e32 v[4:5], v[6:7], v[0:1]
	v_mul_f64 v[0:1], v[8:9], v[0:1]
	v_fma_f64 v[0:1], v[6:7], v[2:3], -v[0:1]
	v_mul_f64 v[6:7], v[0:1], s[0:1]
	ds_read_b128 v[0:3], v176 offset:16640
	v_mad_u64_u32 v[12:13], s[6:7], s4, v14, v[12:13]
	v_accvgpr_read_b32 v16, a34
	v_mul_f64 v[4:5], v[4:5], s[0:1]
	v_add_u32_e32 v13, s2, v13
	v_accvgpr_read_b32 v18, a36
	v_accvgpr_read_b32 v19, a37
	global_store_dwordx4 v[12:13], v[4:7], off
	ds_read_b128 v[4:7], v176 offset:18720
	v_accvgpr_read_b32 v17, a35
	s_waitcnt lgkmcnt(1)
	v_mul_f64 v[8:9], v[18:19], v[2:3]
	v_fmac_f64_e32 v[8:9], v[16:17], v[0:1]
	v_mul_f64 v[0:1], v[18:19], v[0:1]
	v_fma_f64 v[0:1], v[16:17], v[2:3], -v[0:1]
	v_mad_u64_u32 v[12:13], s[6:7], s4, v14, v[12:13]
	v_mul_f64 v[8:9], v[8:9], s[0:1]
	v_mul_f64 v[10:11], v[0:1], s[0:1]
	v_add_u32_e32 v13, s2, v13
	global_store_dwordx4 v[12:13], v[8:11], off
	s_nop 1
	v_accvgpr_read_b32 v8, a38
	v_accvgpr_read_b32 v10, a40
	;; [unrolled: 1-line block ×4, first 2 shown]
	s_waitcnt lgkmcnt(0)
	v_mul_f64 v[0:1], v[10:11], v[6:7]
	v_mul_f64 v[2:3], v[10:11], v[4:5]
	v_fmac_f64_e32 v[0:1], v[8:9], v[4:5]
	v_fma_f64 v[2:3], v[8:9], v[6:7], -v[2:3]
	v_mul_f64 v[0:1], v[0:1], s[0:1]
	v_mul_f64 v[2:3], v[2:3], s[0:1]
	v_mad_u64_u32 v[4:5], s[0:1], s4, v14, v[12:13]
	v_add_u32_e32 v5, s2, v5
	global_store_dwordx4 v[4:5], v[0:3], off
.LBB0_10:
	s_endpgm
	.section	.rodata,"a",@progbits
	.p2align	6, 0x0
	.amdhsa_kernel bluestein_single_back_len1300_dim1_dp_op_CI_CI
		.amdhsa_group_segment_fixed_size 20800
		.amdhsa_private_segment_fixed_size 0
		.amdhsa_kernarg_size 104
		.amdhsa_user_sgpr_count 2
		.amdhsa_user_sgpr_dispatch_ptr 0
		.amdhsa_user_sgpr_queue_ptr 0
		.amdhsa_user_sgpr_kernarg_segment_ptr 1
		.amdhsa_user_sgpr_dispatch_id 0
		.amdhsa_user_sgpr_kernarg_preload_length 0
		.amdhsa_user_sgpr_kernarg_preload_offset 0
		.amdhsa_user_sgpr_private_segment_size 0
		.amdhsa_uses_dynamic_stack 0
		.amdhsa_enable_private_segment 0
		.amdhsa_system_sgpr_workgroup_id_x 1
		.amdhsa_system_sgpr_workgroup_id_y 0
		.amdhsa_system_sgpr_workgroup_id_z 0
		.amdhsa_system_sgpr_workgroup_info 0
		.amdhsa_system_vgpr_workitem_id 0
		.amdhsa_next_free_vgpr 384
		.amdhsa_next_free_sgpr 48
		.amdhsa_accum_offset 256
		.amdhsa_reserve_vcc 1
		.amdhsa_float_round_mode_32 0
		.amdhsa_float_round_mode_16_64 0
		.amdhsa_float_denorm_mode_32 3
		.amdhsa_float_denorm_mode_16_64 3
		.amdhsa_dx10_clamp 1
		.amdhsa_ieee_mode 1
		.amdhsa_fp16_overflow 0
		.amdhsa_tg_split 0
		.amdhsa_exception_fp_ieee_invalid_op 0
		.amdhsa_exception_fp_denorm_src 0
		.amdhsa_exception_fp_ieee_div_zero 0
		.amdhsa_exception_fp_ieee_overflow 0
		.amdhsa_exception_fp_ieee_underflow 0
		.amdhsa_exception_fp_ieee_inexact 0
		.amdhsa_exception_int_div_zero 0
	.end_amdhsa_kernel
	.text
.Lfunc_end0:
	.size	bluestein_single_back_len1300_dim1_dp_op_CI_CI, .Lfunc_end0-bluestein_single_back_len1300_dim1_dp_op_CI_CI
                                        ; -- End function
	.section	.AMDGPU.csdata,"",@progbits
; Kernel info:
; codeLenInByte = 18624
; NumSgprs: 54
; NumVgprs: 256
; NumAgprs: 128
; TotalNumVgprs: 384
; ScratchSize: 0
; MemoryBound: 0
; FloatMode: 240
; IeeeMode: 1
; LDSByteSize: 20800 bytes/workgroup (compile time only)
; SGPRBlocks: 6
; VGPRBlocks: 47
; NumSGPRsForWavesPerEU: 54
; NumVGPRsForWavesPerEU: 384
; AccumOffset: 256
; Occupancy: 1
; WaveLimiterHint : 1
; COMPUTE_PGM_RSRC2:SCRATCH_EN: 0
; COMPUTE_PGM_RSRC2:USER_SGPR: 2
; COMPUTE_PGM_RSRC2:TRAP_HANDLER: 0
; COMPUTE_PGM_RSRC2:TGID_X_EN: 1
; COMPUTE_PGM_RSRC2:TGID_Y_EN: 0
; COMPUTE_PGM_RSRC2:TGID_Z_EN: 0
; COMPUTE_PGM_RSRC2:TIDIG_COMP_CNT: 0
; COMPUTE_PGM_RSRC3_GFX90A:ACCUM_OFFSET: 63
; COMPUTE_PGM_RSRC3_GFX90A:TG_SPLIT: 0
	.text
	.p2alignl 6, 3212836864
	.fill 256, 4, 3212836864
	.type	__hip_cuid_243e8757177c8da7,@object ; @__hip_cuid_243e8757177c8da7
	.section	.bss,"aw",@nobits
	.globl	__hip_cuid_243e8757177c8da7
__hip_cuid_243e8757177c8da7:
	.byte	0                               ; 0x0
	.size	__hip_cuid_243e8757177c8da7, 1

	.ident	"AMD clang version 19.0.0git (https://github.com/RadeonOpenCompute/llvm-project roc-6.4.0 25133 c7fe45cf4b819c5991fe208aaa96edf142730f1d)"
	.section	".note.GNU-stack","",@progbits
	.addrsig
	.addrsig_sym __hip_cuid_243e8757177c8da7
	.amdgpu_metadata
---
amdhsa.kernels:
  - .agpr_count:     128
    .args:
      - .actual_access:  read_only
        .address_space:  global
        .offset:         0
        .size:           8
        .value_kind:     global_buffer
      - .actual_access:  read_only
        .address_space:  global
        .offset:         8
        .size:           8
        .value_kind:     global_buffer
      - .actual_access:  read_only
        .address_space:  global
        .offset:         16
        .size:           8
        .value_kind:     global_buffer
      - .actual_access:  read_only
        .address_space:  global
        .offset:         24
        .size:           8
        .value_kind:     global_buffer
      - .actual_access:  read_only
        .address_space:  global
        .offset:         32
        .size:           8
        .value_kind:     global_buffer
      - .offset:         40
        .size:           8
        .value_kind:     by_value
      - .address_space:  global
        .offset:         48
        .size:           8
        .value_kind:     global_buffer
      - .address_space:  global
        .offset:         56
        .size:           8
        .value_kind:     global_buffer
      - .address_space:  global
        .offset:         64
        .size:           8
        .value_kind:     global_buffer
      - .address_space:  global
        .offset:         72
        .size:           8
        .value_kind:     global_buffer
      - .offset:         80
        .size:           4
        .value_kind:     by_value
      - .address_space:  global
        .offset:         88
        .size:           8
        .value_kind:     global_buffer
      - .address_space:  global
        .offset:         96
        .size:           8
        .value_kind:     global_buffer
    .group_segment_fixed_size: 20800
    .kernarg_segment_align: 8
    .kernarg_segment_size: 104
    .language:       OpenCL C
    .language_version:
      - 2
      - 0
    .max_flat_workgroup_size: 130
    .name:           bluestein_single_back_len1300_dim1_dp_op_CI_CI
    .private_segment_fixed_size: 0
    .sgpr_count:     54
    .sgpr_spill_count: 0
    .symbol:         bluestein_single_back_len1300_dim1_dp_op_CI_CI.kd
    .uniform_work_group_size: 1
    .uses_dynamic_stack: false
    .vgpr_count:     384
    .vgpr_spill_count: 0
    .wavefront_size: 64
amdhsa.target:   amdgcn-amd-amdhsa--gfx950
amdhsa.version:
  - 1
  - 2
...

	.end_amdgpu_metadata
